;; amdgpu-corpus repo=ROCm/rocFFT kind=compiled arch=gfx1201 opt=O3
	.text
	.amdgcn_target "amdgcn-amd-amdhsa--gfx1201"
	.amdhsa_code_object_version 6
	.protected	fft_rtc_back_len2160_factors_10_6_6_6_wgs_60_tpt_60_halfLds_sp_ip_CI_unitstride_sbrr_dirReg ; -- Begin function fft_rtc_back_len2160_factors_10_6_6_6_wgs_60_tpt_60_halfLds_sp_ip_CI_unitstride_sbrr_dirReg
	.globl	fft_rtc_back_len2160_factors_10_6_6_6_wgs_60_tpt_60_halfLds_sp_ip_CI_unitstride_sbrr_dirReg
	.p2align	8
	.type	fft_rtc_back_len2160_factors_10_6_6_6_wgs_60_tpt_60_halfLds_sp_ip_CI_unitstride_sbrr_dirReg,@function
fft_rtc_back_len2160_factors_10_6_6_6_wgs_60_tpt_60_halfLds_sp_ip_CI_unitstride_sbrr_dirReg: ; @fft_rtc_back_len2160_factors_10_6_6_6_wgs_60_tpt_60_halfLds_sp_ip_CI_unitstride_sbrr_dirReg
; %bb.0:
	s_clause 0x2
	s_load_b128 s[4:7], s[0:1], 0x0
	s_load_b64 s[8:9], s[0:1], 0x50
	s_load_b64 s[10:11], s[0:1], 0x18
	v_mul_u32_u24_e32 v1, 0x445, v0
	v_mov_b32_e32 v3, 0
	s_delay_alu instid0(VALU_DEP_2) | instskip(NEXT) | instid1(VALU_DEP_1)
	v_lshrrev_b32_e32 v1, 16, v1
	v_add_nc_u32_e32 v5, ttmp9, v1
	v_mov_b32_e32 v1, 0
	v_mov_b32_e32 v2, 0
	;; [unrolled: 1-line block ×3, first 2 shown]
	s_wait_kmcnt 0x0
	v_cmp_lt_u64_e64 s2, s[6:7], 2
	s_delay_alu instid0(VALU_DEP_1)
	s_and_b32 vcc_lo, exec_lo, s2
	s_cbranch_vccnz .LBB0_8
; %bb.1:
	s_load_b64 s[2:3], s[0:1], 0x10
	v_mov_b32_e32 v1, 0
	v_mov_b32_e32 v2, 0
	s_add_nc_u64 s[12:13], s[10:11], 8
	s_mov_b64 s[14:15], 1
	s_wait_kmcnt 0x0
	s_add_nc_u64 s[16:17], s[2:3], 8
	s_mov_b32 s3, 0
.LBB0_2:                                ; =>This Inner Loop Header: Depth=1
	s_load_b64 s[18:19], s[16:17], 0x0
                                        ; implicit-def: $vgpr7_vgpr8
	s_mov_b32 s2, exec_lo
	s_wait_kmcnt 0x0
	v_or_b32_e32 v4, s19, v6
	s_delay_alu instid0(VALU_DEP_1)
	v_cmpx_ne_u64_e32 0, v[3:4]
	s_wait_alu 0xfffe
	s_xor_b32 s20, exec_lo, s2
	s_cbranch_execz .LBB0_4
; %bb.3:                                ;   in Loop: Header=BB0_2 Depth=1
	s_cvt_f32_u32 s2, s18
	s_cvt_f32_u32 s21, s19
	s_sub_nc_u64 s[24:25], 0, s[18:19]
	s_wait_alu 0xfffe
	s_delay_alu instid0(SALU_CYCLE_1) | instskip(SKIP_1) | instid1(SALU_CYCLE_2)
	s_fmamk_f32 s2, s21, 0x4f800000, s2
	s_wait_alu 0xfffe
	v_s_rcp_f32 s2, s2
	s_delay_alu instid0(TRANS32_DEP_1) | instskip(SKIP_1) | instid1(SALU_CYCLE_2)
	s_mul_f32 s2, s2, 0x5f7ffffc
	s_wait_alu 0xfffe
	s_mul_f32 s21, s2, 0x2f800000
	s_wait_alu 0xfffe
	s_delay_alu instid0(SALU_CYCLE_2) | instskip(SKIP_1) | instid1(SALU_CYCLE_2)
	s_trunc_f32 s21, s21
	s_wait_alu 0xfffe
	s_fmamk_f32 s2, s21, 0xcf800000, s2
	s_cvt_u32_f32 s23, s21
	s_wait_alu 0xfffe
	s_delay_alu instid0(SALU_CYCLE_1) | instskip(SKIP_1) | instid1(SALU_CYCLE_2)
	s_cvt_u32_f32 s22, s2
	s_wait_alu 0xfffe
	s_mul_u64 s[26:27], s[24:25], s[22:23]
	s_wait_alu 0xfffe
	s_mul_hi_u32 s29, s22, s27
	s_mul_i32 s28, s22, s27
	s_mul_hi_u32 s2, s22, s26
	s_mul_i32 s30, s23, s26
	s_wait_alu 0xfffe
	s_add_nc_u64 s[28:29], s[2:3], s[28:29]
	s_mul_hi_u32 s21, s23, s26
	s_mul_hi_u32 s31, s23, s27
	s_add_co_u32 s2, s28, s30
	s_wait_alu 0xfffe
	s_add_co_ci_u32 s2, s29, s21
	s_mul_i32 s26, s23, s27
	s_add_co_ci_u32 s27, s31, 0
	s_wait_alu 0xfffe
	s_add_nc_u64 s[26:27], s[2:3], s[26:27]
	s_wait_alu 0xfffe
	v_add_co_u32 v4, s2, s22, s26
	s_delay_alu instid0(VALU_DEP_1) | instskip(SKIP_1) | instid1(VALU_DEP_1)
	s_cmp_lg_u32 s2, 0
	s_add_co_ci_u32 s23, s23, s27
	v_readfirstlane_b32 s22, v4
	s_wait_alu 0xfffe
	s_delay_alu instid0(VALU_DEP_1)
	s_mul_u64 s[24:25], s[24:25], s[22:23]
	s_wait_alu 0xfffe
	s_mul_hi_u32 s27, s22, s25
	s_mul_i32 s26, s22, s25
	s_mul_hi_u32 s2, s22, s24
	s_mul_i32 s28, s23, s24
	s_wait_alu 0xfffe
	s_add_nc_u64 s[26:27], s[2:3], s[26:27]
	s_mul_hi_u32 s21, s23, s24
	s_mul_hi_u32 s22, s23, s25
	s_wait_alu 0xfffe
	s_add_co_u32 s2, s26, s28
	s_add_co_ci_u32 s2, s27, s21
	s_mul_i32 s24, s23, s25
	s_add_co_ci_u32 s25, s22, 0
	s_wait_alu 0xfffe
	s_add_nc_u64 s[24:25], s[2:3], s[24:25]
	s_wait_alu 0xfffe
	v_add_co_u32 v4, s2, v4, s24
	s_delay_alu instid0(VALU_DEP_1) | instskip(SKIP_1) | instid1(VALU_DEP_1)
	s_cmp_lg_u32 s2, 0
	s_add_co_ci_u32 s2, s23, s25
	v_mul_hi_u32 v13, v5, v4
	s_wait_alu 0xfffe
	v_mad_co_u64_u32 v[7:8], null, v5, s2, 0
	v_mad_co_u64_u32 v[9:10], null, v6, v4, 0
	;; [unrolled: 1-line block ×3, first 2 shown]
	s_delay_alu instid0(VALU_DEP_3) | instskip(SKIP_1) | instid1(VALU_DEP_4)
	v_add_co_u32 v4, vcc_lo, v13, v7
	s_wait_alu 0xfffd
	v_add_co_ci_u32_e32 v7, vcc_lo, 0, v8, vcc_lo
	s_delay_alu instid0(VALU_DEP_2) | instskip(SKIP_1) | instid1(VALU_DEP_2)
	v_add_co_u32 v4, vcc_lo, v4, v9
	s_wait_alu 0xfffd
	v_add_co_ci_u32_e32 v4, vcc_lo, v7, v10, vcc_lo
	s_wait_alu 0xfffd
	v_add_co_ci_u32_e32 v7, vcc_lo, 0, v12, vcc_lo
	s_delay_alu instid0(VALU_DEP_2) | instskip(SKIP_1) | instid1(VALU_DEP_2)
	v_add_co_u32 v4, vcc_lo, v4, v11
	s_wait_alu 0xfffd
	v_add_co_ci_u32_e32 v9, vcc_lo, 0, v7, vcc_lo
	s_delay_alu instid0(VALU_DEP_2) | instskip(SKIP_1) | instid1(VALU_DEP_3)
	v_mul_lo_u32 v10, s19, v4
	v_mad_co_u64_u32 v[7:8], null, s18, v4, 0
	v_mul_lo_u32 v11, s18, v9
	s_delay_alu instid0(VALU_DEP_2) | instskip(NEXT) | instid1(VALU_DEP_2)
	v_sub_co_u32 v7, vcc_lo, v5, v7
	v_add3_u32 v8, v8, v11, v10
	s_delay_alu instid0(VALU_DEP_1) | instskip(SKIP_1) | instid1(VALU_DEP_1)
	v_sub_nc_u32_e32 v10, v6, v8
	s_wait_alu 0xfffd
	v_subrev_co_ci_u32_e64 v10, s2, s19, v10, vcc_lo
	v_add_co_u32 v11, s2, v4, 2
	s_wait_alu 0xf1ff
	v_add_co_ci_u32_e64 v12, s2, 0, v9, s2
	v_sub_co_u32 v13, s2, v7, s18
	v_sub_co_ci_u32_e32 v8, vcc_lo, v6, v8, vcc_lo
	s_wait_alu 0xf1ff
	v_subrev_co_ci_u32_e64 v10, s2, 0, v10, s2
	s_delay_alu instid0(VALU_DEP_3) | instskip(NEXT) | instid1(VALU_DEP_3)
	v_cmp_le_u32_e32 vcc_lo, s18, v13
	v_cmp_eq_u32_e64 s2, s19, v8
	s_wait_alu 0xfffd
	v_cndmask_b32_e64 v13, 0, -1, vcc_lo
	v_cmp_le_u32_e32 vcc_lo, s19, v10
	s_wait_alu 0xfffd
	v_cndmask_b32_e64 v14, 0, -1, vcc_lo
	v_cmp_le_u32_e32 vcc_lo, s18, v7
	;; [unrolled: 3-line block ×3, first 2 shown]
	s_wait_alu 0xfffd
	v_cndmask_b32_e64 v15, 0, -1, vcc_lo
	v_cmp_eq_u32_e32 vcc_lo, s19, v10
	s_wait_alu 0xf1ff
	s_delay_alu instid0(VALU_DEP_2)
	v_cndmask_b32_e64 v7, v15, v7, s2
	s_wait_alu 0xfffd
	v_cndmask_b32_e32 v10, v14, v13, vcc_lo
	v_add_co_u32 v13, vcc_lo, v4, 1
	s_wait_alu 0xfffd
	v_add_co_ci_u32_e32 v14, vcc_lo, 0, v9, vcc_lo
	s_delay_alu instid0(VALU_DEP_3) | instskip(SKIP_2) | instid1(VALU_DEP_3)
	v_cmp_ne_u32_e32 vcc_lo, 0, v10
	s_wait_alu 0xfffd
	v_cndmask_b32_e32 v10, v13, v11, vcc_lo
	v_cndmask_b32_e32 v8, v14, v12, vcc_lo
	v_cmp_ne_u32_e32 vcc_lo, 0, v7
	s_wait_alu 0xfffd
	s_delay_alu instid0(VALU_DEP_2)
	v_dual_cndmask_b32 v7, v4, v10 :: v_dual_cndmask_b32 v8, v9, v8
.LBB0_4:                                ;   in Loop: Header=BB0_2 Depth=1
	s_wait_alu 0xfffe
	s_and_not1_saveexec_b32 s2, s20
	s_cbranch_execz .LBB0_6
; %bb.5:                                ;   in Loop: Header=BB0_2 Depth=1
	v_cvt_f32_u32_e32 v4, s18
	s_sub_co_i32 s20, 0, s18
	s_delay_alu instid0(VALU_DEP_1) | instskip(NEXT) | instid1(TRANS32_DEP_1)
	v_rcp_iflag_f32_e32 v4, v4
	v_mul_f32_e32 v4, 0x4f7ffffe, v4
	s_delay_alu instid0(VALU_DEP_1) | instskip(SKIP_1) | instid1(VALU_DEP_1)
	v_cvt_u32_f32_e32 v4, v4
	s_wait_alu 0xfffe
	v_mul_lo_u32 v7, s20, v4
	s_delay_alu instid0(VALU_DEP_1) | instskip(NEXT) | instid1(VALU_DEP_1)
	v_mul_hi_u32 v7, v4, v7
	v_add_nc_u32_e32 v4, v4, v7
	s_delay_alu instid0(VALU_DEP_1) | instskip(NEXT) | instid1(VALU_DEP_1)
	v_mul_hi_u32 v4, v5, v4
	v_mul_lo_u32 v7, v4, s18
	v_add_nc_u32_e32 v8, 1, v4
	s_delay_alu instid0(VALU_DEP_2) | instskip(NEXT) | instid1(VALU_DEP_1)
	v_sub_nc_u32_e32 v7, v5, v7
	v_subrev_nc_u32_e32 v9, s18, v7
	v_cmp_le_u32_e32 vcc_lo, s18, v7
	s_wait_alu 0xfffd
	s_delay_alu instid0(VALU_DEP_2) | instskip(NEXT) | instid1(VALU_DEP_1)
	v_dual_cndmask_b32 v7, v7, v9 :: v_dual_cndmask_b32 v4, v4, v8
	v_cmp_le_u32_e32 vcc_lo, s18, v7
	s_delay_alu instid0(VALU_DEP_2) | instskip(SKIP_1) | instid1(VALU_DEP_1)
	v_add_nc_u32_e32 v8, 1, v4
	s_wait_alu 0xfffd
	v_dual_cndmask_b32 v7, v4, v8 :: v_dual_mov_b32 v8, v3
.LBB0_6:                                ;   in Loop: Header=BB0_2 Depth=1
	s_wait_alu 0xfffe
	s_or_b32 exec_lo, exec_lo, s2
	s_load_b64 s[20:21], s[12:13], 0x0
	s_delay_alu instid0(VALU_DEP_1)
	v_mul_lo_u32 v4, v8, s18
	v_mul_lo_u32 v11, v7, s19
	v_mad_co_u64_u32 v[9:10], null, v7, s18, 0
	s_add_nc_u64 s[14:15], s[14:15], 1
	s_add_nc_u64 s[12:13], s[12:13], 8
	s_wait_alu 0xfffe
	v_cmp_ge_u64_e64 s2, s[14:15], s[6:7]
	s_add_nc_u64 s[16:17], s[16:17], 8
	s_delay_alu instid0(VALU_DEP_2) | instskip(NEXT) | instid1(VALU_DEP_3)
	v_add3_u32 v4, v10, v11, v4
	v_sub_co_u32 v5, vcc_lo, v5, v9
	s_wait_alu 0xfffd
	s_delay_alu instid0(VALU_DEP_2) | instskip(SKIP_3) | instid1(VALU_DEP_2)
	v_sub_co_ci_u32_e32 v4, vcc_lo, v6, v4, vcc_lo
	s_and_b32 vcc_lo, exec_lo, s2
	s_wait_kmcnt 0x0
	v_mul_lo_u32 v6, s21, v5
	v_mul_lo_u32 v4, s20, v4
	v_mad_co_u64_u32 v[1:2], null, s20, v5, v[1:2]
	s_delay_alu instid0(VALU_DEP_1)
	v_add3_u32 v2, v6, v2, v4
	s_wait_alu 0xfffe
	s_cbranch_vccnz .LBB0_9
; %bb.7:                                ;   in Loop: Header=BB0_2 Depth=1
	v_dual_mov_b32 v5, v7 :: v_dual_mov_b32 v6, v8
	s_branch .LBB0_2
.LBB0_8:
	v_dual_mov_b32 v8, v6 :: v_dual_mov_b32 v7, v5
.LBB0_9:
	s_lshl_b64 s[2:3], s[6:7], 3
	v_mul_hi_u32 v5, 0x4444445, v0
	s_wait_alu 0xfffe
	s_add_nc_u64 s[2:3], s[10:11], s[2:3]
                                        ; implicit-def: $vgpr22
                                        ; implicit-def: $vgpr14
                                        ; implicit-def: $vgpr20
                                        ; implicit-def: $vgpr12
                                        ; implicit-def: $vgpr18
                                        ; implicit-def: $vgpr16
                                        ; implicit-def: $vgpr28
                                        ; implicit-def: $vgpr38
                                        ; implicit-def: $vgpr30
                                        ; implicit-def: $vgpr42
                                        ; implicit-def: $vgpr32
                                        ; implicit-def: $vgpr36
                                        ; implicit-def: $vgpr34
                                        ; implicit-def: $vgpr40
                                        ; implicit-def: $vgpr26
                                        ; implicit-def: $vgpr24
                                        ; implicit-def: $vgpr54
                                        ; implicit-def: $vgpr50
                                        ; implicit-def: $vgpr60
                                        ; implicit-def: $vgpr52
                                        ; implicit-def: $vgpr48
                                        ; implicit-def: $vgpr56
                                        ; implicit-def: $vgpr62
                                        ; implicit-def: $vgpr58
                                        ; implicit-def: $vgpr46
                                        ; implicit-def: $vgpr44
                                        ; implicit-def: $vgpr72
                                        ; implicit-def: $vgpr68
                                        ; implicit-def: $vgpr74
                                        ; implicit-def: $vgpr80
                                        ; implicit-def: $vgpr76
                                        ; implicit-def: $vgpr70
                                        ; implicit-def: $vgpr82
                                        ; implicit-def: $vgpr78
                                        ; implicit-def: $vgpr66
                                        ; implicit-def: $vgpr64
	s_load_b64 s[2:3], s[2:3], 0x0
	s_load_b64 s[0:1], s[0:1], 0x20
	s_wait_kmcnt 0x0
	v_mul_lo_u32 v3, s2, v8
	v_mul_lo_u32 v4, s3, v7
	v_mad_co_u64_u32 v[1:2], null, s2, v7, v[1:2]
	v_cmp_gt_u64_e32 vcc_lo, s[0:1], v[7:8]
                                        ; implicit-def: $vgpr7
	s_delay_alu instid0(VALU_DEP_2) | instskip(SKIP_1) | instid1(VALU_DEP_2)
	v_add3_u32 v2, v4, v2, v3
	v_mul_u32_u24_e32 v3, 60, v5
                                        ; implicit-def: $vgpr5
	v_lshlrev_b64_e32 v[8:9], 3, v[1:2]
	s_delay_alu instid0(VALU_DEP_2)
	v_sub_nc_u32_e32 v10, v0, v3
                                        ; implicit-def: $vgpr3
                                        ; implicit-def: $vgpr1
	s_and_saveexec_b32 s1, vcc_lo
	s_cbranch_execz .LBB0_13
; %bb.10:
	v_mov_b32_e32 v11, 0
	s_delay_alu instid0(VALU_DEP_3) | instskip(SKIP_2) | instid1(VALU_DEP_3)
	v_add_co_u32 v2, s0, s8, v8
	s_wait_alu 0xf1ff
	v_add_co_ci_u32_e64 v3, s0, s9, v9, s0
	v_lshlrev_b64_e32 v[0:1], 3, v[10:11]
	s_mov_b32 s2, exec_lo
                                        ; implicit-def: $vgpr15
                                        ; implicit-def: $vgpr6
                                        ; implicit-def: $vgpr17
                                        ; implicit-def: $vgpr11
                                        ; implicit-def: $vgpr19
                                        ; implicit-def: $vgpr13
                                        ; implicit-def: $vgpr21
                                        ; implicit-def: $vgpr4
	s_delay_alu instid0(VALU_DEP_1) | instskip(SKIP_1) | instid1(VALU_DEP_2)
	v_add_co_u32 v83, s0, v2, v0
	s_wait_alu 0xf1ff
	v_add_co_ci_u32_e64 v84, s0, v3, v1, s0
                                        ; implicit-def: $vgpr0
                                        ; implicit-def: $vgpr2
	s_clause 0x1d
	global_load_b64 v[63:64], v[83:84], off
	global_load_b64 v[43:44], v[83:84], off offset:480
	global_load_b64 v[45:46], v[83:84], off offset:2208
	global_load_b64 v[57:58], v[83:84], off offset:3936
	global_load_b64 v[69:70], v[83:84], off offset:6912
	global_load_b64 v[55:56], v[83:84], off offset:7392
	global_load_b64 v[47:48], v[83:84], off offset:9120
	global_load_b64 v[51:52], v[83:84], off offset:10848
	global_load_b64 v[67:68], v[83:84], off offset:13824
	global_load_b64 v[49:50], v[83:84], off offset:14304
	global_load_b64 v[65:66], v[83:84], off offset:1728
	global_load_b64 v[23:24], v[83:84], off offset:960
	global_load_b64 v[77:78], v[83:84], off offset:3456
	global_load_b64 v[25:26], v[83:84], off offset:2688
	global_load_b64 v[61:62], v[83:84], off offset:5664
	global_load_b64 v[33:34], v[83:84], off offset:6144
	global_load_b64 v[81:82], v[83:84], off offset:5184
	global_load_b64 v[39:40], v[83:84], off offset:4416
	global_load_b64 v[75:76], v[83:84], off offset:8640
	global_load_b64 v[35:36], v[83:84], off offset:7872
	global_load_b64 v[79:80], v[83:84], off offset:10368
	global_load_b64 v[31:32], v[83:84], off offset:9600
	global_load_b64 v[59:60], v[83:84], off offset:12576
	global_load_b64 v[29:30], v[83:84], off offset:13056
	global_load_b64 v[73:74], v[83:84], off offset:12096
	global_load_b64 v[41:42], v[83:84], off offset:11328
	global_load_b64 v[71:72], v[83:84], off offset:15552
	global_load_b64 v[37:38], v[83:84], off offset:14784
	global_load_b64 v[53:54], v[83:84], off offset:16032
	global_load_b64 v[27:28], v[83:84], off offset:16512
	v_cmpx_gt_u32_e32 36, v10
; %bb.11:
	s_clause 0x9
	global_load_b64 v[0:1], v[83:84], off offset:1440
	global_load_b64 v[2:3], v[83:84], off offset:3168
	;; [unrolled: 1-line block ×10, first 2 shown]
; %bb.12:
	s_wait_alu 0xfffe
	s_or_b32 exec_lo, exec_lo, s2
.LBB0_13:
	s_wait_alu 0xfffe
	s_or_b32 exec_lo, exec_lo, s1
	s_wait_loadcnt 0x9
	v_dual_add_f32 v83, v79, v69 :: v_dual_add_f32 v84, v77, v63
	v_dual_sub_f32 v85, v78, v68 :: v_dual_sub_f32 v88, v67, v79
	v_sub_f32_e32 v86, v70, v80
	s_delay_alu instid0(VALU_DEP_3)
	v_fma_f32 v87, -0.5, v83, v63
	v_sub_f32_e32 v83, v77, v69
	v_dual_add_f32 v89, v67, v77 :: v_dual_add_f32 v84, v69, v84
	s_wait_loadcnt 0x3
	v_dual_sub_f32 v97, v75, v73 :: v_dual_sub_f32 v98, v72, v74
	v_fmamk_f32 v95, v85, 0xbf737871, v87
	v_fmac_f32_e32 v87, 0x3f737871, v85
	v_dual_fmac_f32 v63, -0.5, v89 :: v_dual_add_f32 v84, v79, v84
	v_add_f32_e32 v83, v88, v83
	s_delay_alu instid0(VALU_DEP_4) | instskip(NEXT) | instid1(VALU_DEP_4)
	v_dual_fmac_f32 v95, 0xbf167918, v86 :: v_dual_add_f32 v88, v73, v75
	v_dual_fmac_f32 v87, 0x3f167918, v86 :: v_dual_add_f32 v92, v81, v65
	s_delay_alu instid0(VALU_DEP_4) | instskip(NEXT) | instid1(VALU_DEP_3)
	v_add_f32_e32 v90, v67, v84
	v_dual_sub_f32 v84, v69, v77 :: v_dual_fmac_f32 v95, 0x3e9e377a, v83
	s_delay_alu instid0(VALU_DEP_3)
	v_dual_sub_f32 v94, v71, v73 :: v_dual_fmac_f32 v87, 0x3e9e377a, v83
	v_fma_f32 v83, -0.5, v88, v65
	v_sub_f32_e32 v88, v82, v72
	v_fmamk_f32 v91, v86, 0x3f737871, v63
	v_dual_fmac_f32 v63, 0xbf737871, v86 :: v_dual_add_f32 v86, v75, v92
	v_sub_f32_e32 v92, v81, v75
	v_sub_f32_e32 v89, v79, v67
	s_delay_alu instid0(VALU_DEP_4) | instskip(SKIP_1) | instid1(VALU_DEP_4)
	v_fmac_f32_e32 v91, 0xbf167918, v85
	v_dual_sub_f32 v101, v49, v51 :: v_dual_sub_f32 v104, v55, v57
	v_dual_add_f32 v94, v94, v92 :: v_dual_fmac_f32 v63, 0x3f167918, v85
	v_add_f32_e32 v85, v73, v86
	v_dual_sub_f32 v93, v76, v74 :: v_dual_add_f32 v86, v71, v81
	v_dual_sub_f32 v96, v73, v71 :: v_dual_sub_f32 v105, v51, v49
	s_delay_alu instid0(VALU_DEP_3) | instskip(SKIP_1) | instid1(VALU_DEP_4)
	v_dual_add_f32 v92, v71, v85 :: v_dual_add_f32 v89, v89, v84
	v_fmamk_f32 v84, v88, 0xbf737871, v83
	v_dual_fmac_f32 v65, -0.5, v86 :: v_dual_add_f32 v86, v74, v76
	v_fmac_f32_e32 v83, 0x3f737871, v88
	s_wait_loadcnt 0x0
	s_delay_alu instid0(VALU_DEP_3)
	v_dual_sub_f32 v109, v33, v27 :: v_dual_fmac_f32 v84, 0xbf167918, v93
	v_fmac_f32_e32 v91, 0x3e9e377a, v89
	v_fmac_f32_e32 v63, 0x3e9e377a, v89
	v_sub_f32_e32 v89, v75, v81
	v_fma_f32 v86, -0.5, v86, v66
	v_sub_f32_e32 v81, v81, v71
	v_dual_sub_f32 v75, v82, v76 :: v_dual_fmac_f32 v84, 0x3e9e377a, v94
	s_delay_alu instid0(VALU_DEP_4) | instskip(SKIP_1) | instid1(VALU_DEP_4)
	v_add_f32_e32 v89, v96, v89
	v_dual_add_f32 v96, v72, v82 :: v_dual_fmac_f32 v83, 0x3f167918, v93
	v_fmamk_f32 v71, v81, 0x3f737871, v86
	v_dual_fmac_f32 v86, 0xbf737871, v81 :: v_dual_sub_f32 v111, v30, v28
	s_delay_alu instid0(VALU_DEP_3) | instskip(NEXT) | instid1(VALU_DEP_4)
	v_fma_f32 v73, -0.5, v96, v66
	v_dual_fmac_f32 v83, 0x3e9e377a, v94 :: v_dual_add_f32 v94, v98, v75
	v_sub_f32_e32 v96, v76, v82
	v_dual_sub_f32 v98, v74, v72 :: v_dual_fmamk_f32 v85, v93, 0x3f737871, v65
	s_delay_alu instid0(VALU_DEP_4) | instskip(SKIP_2) | instid1(VALU_DEP_4)
	v_fmamk_f32 v75, v97, 0xbf737871, v73
	v_fmac_f32_e32 v73, 0x3f737871, v97
	v_fmac_f32_e32 v65, 0xbf737871, v93
	v_dual_add_f32 v93, v98, v96 :: v_dual_fmac_f32 v86, 0xbf167918, v97
	s_delay_alu instid0(VALU_DEP_4) | instskip(NEXT) | instid1(VALU_DEP_4)
	v_fmac_f32_e32 v75, 0x3f167918, v81
	v_fmac_f32_e32 v73, 0xbf167918, v81
	;; [unrolled: 1-line block ×3, first 2 shown]
	v_add_f32_e32 v102, v49, v57
	s_delay_alu instid0(VALU_DEP_4) | instskip(NEXT) | instid1(VALU_DEP_4)
	v_dual_fmac_f32 v86, 0x3e9e377a, v94 :: v_dual_fmac_f32 v75, 0x3e9e377a, v93
	v_fmac_f32_e32 v73, 0x3e9e377a, v93
	v_dual_add_f32 v93, v92, v90 :: v_dual_sub_f32 v92, v90, v92
	v_add_f32_e32 v90, v51, v55
	v_cmp_gt_u32_e64 s0, 36, v10
	v_sub_f32_e32 v100, v57, v55
	v_sub_f32_e32 v110, v32, v34
	v_add_f32_e32 v108, v28, v34
	v_fma_f32 v99, -0.5, v90, v43
	v_sub_f32_e32 v90, v58, v50
	v_dual_fmac_f32 v71, 0x3e9e377a, v94 :: v_dual_add_f32 v100, v101, v100
	v_add_f32_e32 v101, v57, v43
	v_dual_fmac_f32 v43, -0.5, v102 :: v_dual_sub_f32 v102, v56, v52
	s_delay_alu instid0(VALU_DEP_3)
	v_mul_f32_e32 v81, 0xbf167918, v71
	v_fmamk_f32 v103, v90, 0xbf737871, v99
	v_fmac_f32_e32 v99, 0x3f737871, v90
	v_fmac_f32_e32 v65, 0x3f167918, v88
	v_fmamk_f32 v106, v102, 0x3f737871, v43
	v_fmac_f32_e32 v81, 0x3f4f1bbd, v84
	v_fmac_f32_e32 v85, 0xbf167918, v88
	;; [unrolled: 1-line block ×4, first 2 shown]
	s_delay_alu instid0(VALU_DEP_4) | instskip(NEXT) | instid1(VALU_DEP_4)
	v_dual_fmac_f32 v99, 0x3f167918, v102 :: v_dual_add_f32 v94, v95, v81
	v_dual_fmac_f32 v85, 0x3e9e377a, v89 :: v_dual_add_f32 v102, v105, v104
	v_fmac_f32_e32 v106, 0xbf167918, v90
	v_mul_f32_e32 v88, 0xbf737871, v73
	s_delay_alu instid0(VALU_DEP_4) | instskip(SKIP_1) | instid1(VALU_DEP_4)
	v_dual_fmac_f32 v99, 0x3e9e377a, v100 :: v_dual_sub_f32 v104, v48, v62
	v_sub_f32_e32 v105, v60, v54
	v_dual_fmac_f32 v106, 0x3e9e377a, v102 :: v_dual_fmac_f32 v103, 0x3e9e377a, v100
	v_dual_fmac_f32 v43, 0x3f167918, v90 :: v_dual_add_f32 v90, v59, v47
	v_dual_fmac_f32 v65, 0x3e9e377a, v89 :: v_dual_sub_f32 v100, v62, v54
	v_mul_f32_e32 v89, 0xbf167918, v86
	s_delay_alu instid0(VALU_DEP_3) | instskip(SKIP_1) | instid1(VALU_DEP_4)
	v_fma_f32 v90, -0.5, v90, v45
	v_mul_f32_e32 v97, 0xbf737871, v75
	v_fmac_f32_e32 v88, 0xbe9e377a, v65
	v_sub_f32_e32 v95, v95, v81
	v_mul_u32_u24_e32 v81, 10, v10
	v_fmac_f32_e32 v89, 0xbf4f1bbd, v83
	s_delay_alu instid0(VALU_DEP_4) | instskip(SKIP_1) | instid1(VALU_DEP_4)
	v_dual_fmac_f32 v97, 0x3e9e377a, v85 :: v_dual_add_f32 v98, v63, v88
	v_sub_f32_e32 v116, v63, v88
	v_lshl_add_u32 v81, v81, 2, 0
	s_delay_alu instid0(VALU_DEP_3)
	v_dual_add_f32 v63, v4, v6 :: v_dual_sub_f32 v96, v91, v97
	v_add_f32_e32 v97, v91, v97
	v_add_f32_e32 v91, v87, v89
	ds_store_2addr_b64 v81, v[93:94], v[97:98] offset1:1
	ds_store_2addr_b64 v81, v[91:92], v[95:96] offset0:2 offset1:3
	v_sub_f32_e32 v91, v61, v47
	v_dual_sub_f32 v93, v53, v59 :: v_dual_fmamk_f32 v92, v100, 0xbf737871, v90
	v_dual_sub_f32 v94, v48, v60 :: v_dual_add_f32 v95, v53, v61
	s_delay_alu instid0(VALU_DEP_2) | instskip(SKIP_1) | instid1(VALU_DEP_3)
	v_dual_fmac_f32 v90, 0x3f737871, v100 :: v_dual_add_f32 v91, v93, v91
	v_add_f32_e32 v98, v61, v45
	v_dual_fmac_f32 v92, 0xbf167918, v94 :: v_dual_fmac_f32 v45, -0.5, v95
	s_delay_alu instid0(VALU_DEP_3) | instskip(SKIP_1) | instid1(VALU_DEP_3)
	v_dual_fmac_f32 v90, 0x3f167918, v94 :: v_dual_sub_f32 v95, v47, v61
	v_sub_f32_e32 v96, v59, v53
	v_fmac_f32_e32 v92, 0x3e9e377a, v91
	s_delay_alu instid0(VALU_DEP_4) | instskip(NEXT) | instid1(VALU_DEP_4)
	v_fmamk_f32 v93, v94, 0x3f737871, v45
	v_fmac_f32_e32 v90, 0x3e9e377a, v91
	v_fmac_f32_e32 v45, 0xbf737871, v94
	v_add_f32_e32 v91, v96, v95
	v_add_f32_e32 v94, v60, v48
	v_sub_f32_e32 v95, v62, v48
	v_sub_f32_e32 v96, v54, v60
	v_add_f32_e32 v97, v54, v62
	v_fmac_f32_e32 v93, 0xbf167918, v100
	v_fma_f32 v94, -0.5, v94, v46
	v_sub_f32_e32 v61, v61, v53
	v_dual_fmac_f32 v45, 0x3f167918, v100 :: v_dual_add_f32 v100, v96, v95
	v_fmac_f32_e32 v43, 0x3e9e377a, v102
	v_fma_f32 v95, -0.5, v97, v46
	v_sub_f32_e32 v102, v47, v59
	v_fmamk_f32 v96, v61, 0x3f737871, v94
	v_dual_fmac_f32 v94, 0xbf737871, v61 :: v_dual_add_f32 v47, v47, v98
	v_fmac_f32_e32 v93, 0x3e9e377a, v91
	s_delay_alu instid0(VALU_DEP_4) | instskip(SKIP_3) | instid1(VALU_DEP_4)
	v_fmamk_f32 v97, v102, 0xbf737871, v95
	v_fmac_f32_e32 v95, 0x3f737871, v102
	v_fmac_f32_e32 v96, 0x3f167918, v102
	v_fmac_f32_e32 v94, 0xbf167918, v102
	v_dual_add_f32 v102, v105, v104 :: v_dual_fmac_f32 v97, 0x3f167918, v61
	s_delay_alu instid0(VALU_DEP_4) | instskip(NEXT) | instid1(VALU_DEP_4)
	v_fmac_f32_e32 v95, 0xbf167918, v61
	v_dual_add_f32 v61, v55, v101 :: v_dual_fmac_f32 v96, 0x3e9e377a, v100
	v_add_f32_e32 v47, v59, v47
	s_delay_alu instid0(VALU_DEP_4) | instskip(NEXT) | instid1(VALU_DEP_4)
	v_fmac_f32_e32 v97, 0x3e9e377a, v102
	v_fmac_f32_e32 v95, 0x3e9e377a, v102
	s_delay_alu instid0(VALU_DEP_4)
	v_add_f32_e32 v61, v51, v61
	v_mul_f32_e32 v59, 0xbf167918, v96
	v_add_f32_e32 v47, v53, v47
	v_mul_f32_e32 v53, 0xbf737871, v97
	v_dual_fmac_f32 v94, 0x3e9e377a, v100 :: v_dual_fmac_f32 v45, 0x3e9e377a, v91
	v_add_f32_e32 v61, v49, v61
	v_fmac_f32_e32 v59, 0x3f4f1bbd, v92
	v_mul_f32_e32 v118, 0xbf737871, v95
	v_fmac_f32_e32 v53, 0x3e9e377a, v93
	s_delay_alu instid0(VALU_DEP_4) | instskip(NEXT) | instid1(VALU_DEP_3)
	v_dual_mul_f32 v119, 0xbf167918, v94 :: v_dual_add_f32 v100, v47, v61
	v_dual_sub_f32 v107, v61, v47 :: v_dual_fmac_f32 v118, 0xbe9e377a, v45
	s_delay_alu instid0(VALU_DEP_3)
	v_dual_add_f32 v104, v106, v53 :: v_dual_add_f32 v101, v103, v59
	v_dual_sub_f32 v102, v103, v59 :: v_dual_sub_f32 v103, v106, v53
	v_add_f32_e32 v47, v41, v35
	v_fmac_f32_e32 v119, 0xbf4f1bbd, v90
	v_add_f32_e32 v105, v43, v118
	v_dual_sub_f32 v118, v43, v118 :: v_dual_add_nc_u32 v91, 0x960, v81
	v_sub_f32_e32 v53, v39, v35
	v_fma_f32 v120, -0.5, v47, v23
	v_dual_sub_f32 v47, v40, v38 :: v_dual_add_f32 v98, v37, v39
	v_sub_f32_e32 v43, v12, v14
	v_fma_f32 v88, -0.5, v63, v2
	v_dual_sub_f32 v59, v37, v41 :: v_dual_add_f32 v106, v99, v119
	v_add_nc_u32_e32 v61, 0x970, v81
	ds_store_2addr_b64 v91, v[100:101], v[104:105] offset1:1
	ds_store_2addr_b64 v61, v[106:107], v[102:103] offset1:1
	v_add_f32_e32 v53, v59, v53
	v_add_f32_e32 v100, v39, v23
	v_dual_fmamk_f32 v102, v47, 0xbf737871, v120 :: v_dual_sub_f32 v59, v36, v42
	v_dual_fmac_f32 v23, -0.5, v98 :: v_dual_fmac_f32 v120, 0x3f737871, v47
	v_dual_sub_f32 v98, v35, v39 :: v_dual_sub_f32 v101, v41, v37
	s_delay_alu instid0(VALU_DEP_3) | instskip(NEXT) | instid1(VALU_DEP_3)
	v_fmac_f32_e32 v102, 0xbf167918, v59
	v_fmamk_f32 v103, v59, 0x3f737871, v23
	v_fmac_f32_e32 v23, 0xbf737871, v59
	s_delay_alu instid0(VALU_DEP_4) | instskip(SKIP_1) | instid1(VALU_DEP_4)
	v_dual_fmac_f32 v120, 0x3f167918, v59 :: v_dual_add_f32 v59, v101, v98
	v_add_f32_e32 v98, v29, v31
	v_fmac_f32_e32 v103, 0xbf167918, v47
	s_delay_alu instid0(VALU_DEP_4) | instskip(SKIP_1) | instid1(VALU_DEP_4)
	v_fmac_f32_e32 v23, 0x3f167918, v47
	v_dual_sub_f32 v101, v34, v28 :: v_dual_fmac_f32 v102, 0x3e9e377a, v53
	v_fma_f32 v47, -0.5, v98, v25
	s_delay_alu instid0(VALU_DEP_4) | instskip(NEXT) | instid1(VALU_DEP_4)
	v_dual_fmac_f32 v120, 0x3e9e377a, v53 :: v_dual_fmac_f32 v103, 0x3e9e377a, v59
	v_fmac_f32_e32 v23, 0x3e9e377a, v59
	v_dual_sub_f32 v59, v33, v31 :: v_dual_sub_f32 v98, v27, v29
	s_delay_alu instid0(VALU_DEP_4) | instskip(SKIP_1) | instid1(VALU_DEP_3)
	v_dual_fmamk_f32 v53, v101, 0xbf737871, v47 :: v_dual_sub_f32 v104, v32, v30
	v_add_f32_e32 v105, v27, v33
	v_dual_fmac_f32 v47, 0x3f737871, v101 :: v_dual_add_f32 v98, v98, v59
	v_add_f32_e32 v107, v33, v25
	s_delay_alu instid0(VALU_DEP_4) | instskip(NEXT) | instid1(VALU_DEP_4)
	v_fmac_f32_e32 v53, 0xbf167918, v104
	v_fmac_f32_e32 v25, -0.5, v105
	s_delay_alu instid0(VALU_DEP_4) | instskip(SKIP_1) | instid1(VALU_DEP_4)
	v_fmac_f32_e32 v47, 0x3f167918, v104
	v_dual_sub_f32 v105, v31, v33 :: v_dual_sub_f32 v106, v29, v27
	v_fmac_f32_e32 v53, 0x3e9e377a, v98
	s_delay_alu instid0(VALU_DEP_4) | instskip(NEXT) | instid1(VALU_DEP_4)
	v_fmamk_f32 v59, v104, 0x3f737871, v25
	v_fmac_f32_e32 v47, 0x3e9e377a, v98
	v_fmac_f32_e32 v25, 0xbf737871, v104
	v_add_f32_e32 v98, v30, v32
	v_add_f32_e32 v104, v106, v105
	v_fmac_f32_e32 v59, 0xbf167918, v101
	v_dual_sub_f32 v105, v34, v32 :: v_dual_sub_f32 v106, v28, v30
	s_delay_alu instid0(VALU_DEP_4)
	v_fma_f32 v98, -0.5, v98, v26
	v_fmac_f32_e32 v25, 0x3f167918, v101
	v_fma_f32 v101, -0.5, v108, v26
	v_sub_f32_e32 v108, v31, v29
	v_add_f32_e32 v105, v106, v105
	v_fmamk_f32 v33, v109, 0x3f737871, v98
	v_fmac_f32_e32 v98, 0xbf737871, v109
	v_add_f32_e32 v100, v35, v100
	v_dual_fmamk_f32 v106, v108, 0xbf737871, v101 :: v_dual_add_f32 v31, v31, v107
	v_fmac_f32_e32 v101, 0x3f737871, v108
	v_fmac_f32_e32 v33, 0x3f167918, v108
	;; [unrolled: 1-line block ×3, first 2 shown]
	v_add_f32_e32 v108, v111, v110
	v_fmac_f32_e32 v106, 0x3f167918, v109
	v_add_f32_e32 v100, v41, v100
	v_add_f32_e32 v29, v29, v31
	v_fmac_f32_e32 v101, 0xbf167918, v109
	s_delay_alu instid0(VALU_DEP_4) | instskip(NEXT) | instid1(VALU_DEP_3)
	v_dual_fmac_f32 v33, 0x3e9e377a, v105 :: v_dual_fmac_f32 v106, 0x3e9e377a, v108
	v_dual_add_f32 v100, v37, v100 :: v_dual_add_f32 v27, v27, v29
	v_dual_fmac_f32 v59, 0x3e9e377a, v104 :: v_dual_fmac_f32 v98, 0x3e9e377a, v105
	s_delay_alu instid0(VALU_DEP_3) | instskip(SKIP_1) | instid1(VALU_DEP_4)
	v_mul_f32_e32 v31, 0xbf167918, v33
	v_fmac_f32_e32 v101, 0x3e9e377a, v108
	v_dual_mul_f32 v29, 0xbf737871, v106 :: v_dual_add_f32 v108, v27, v100
	v_sub_f32_e32 v115, v100, v27
	v_add_f32_e32 v27, v13, v11
	v_fmac_f32_e32 v25, 0x3e9e377a, v104
	v_fmac_f32_e32 v31, 0x3f4f1bbd, v53
	v_mul_f32_e32 v104, 0xbf737871, v101
	v_mul_f32_e32 v105, 0xbf167918, v98
	v_fmac_f32_e32 v29, 0x3e9e377a, v59
	v_sub_f32_e32 v117, v87, v89
	v_fma_f32 v87, -0.5, v27, v2
	v_sub_f32_e32 v27, v7, v5
	v_dual_add_f32 v109, v102, v31 :: v_dual_fmac_f32 v104, 0xbe9e377a, v25
	v_fmac_f32_e32 v105, 0xbf4f1bbd, v47
	v_dual_sub_f32 v110, v102, v31 :: v_dual_sub_f32 v111, v103, v29
	v_dual_add_f32 v112, v103, v29 :: v_dual_sub_f32 v29, v6, v11
	v_sub_f32_e32 v31, v4, v13
	v_fmamk_f32 v89, v27, 0xbf737871, v87
	v_fmac_f32_e32 v87, 0x3f737871, v27
	v_dual_add_f32 v113, v23, v104 :: v_dual_add_f32 v114, v120, v105
	v_dual_sub_f32 v121, v120, v105 :: v_dual_sub_f32 v120, v23, v104
	v_add_f32_e32 v23, v31, v29
	v_fmac_f32_e32 v89, 0xbf167918, v43
	v_fmac_f32_e32 v87, 0x3f167918, v43
	v_sub_f32_e32 v29, v11, v6
	v_sub_f32_e32 v31, v13, v4
	;; [unrolled: 1-line block ×3, first 2 shown]
	v_fmac_f32_e32 v89, 0x3e9e377a, v23
	v_fmamk_f32 v99, v43, 0x3f737871, v88
	v_fmac_f32_e32 v87, 0x3e9e377a, v23
	v_dual_fmac_f32 v88, 0xbf737871, v43 :: v_dual_add_f32 v23, v31, v29
	v_add_f32_e32 v29, v14, v12
	v_sub_f32_e32 v31, v7, v12
	v_sub_f32_e32 v43, v5, v14
	v_add_f32_e32 v63, v5, v7
	v_fmac_f32_e32 v99, 0xbf167918, v27
	v_fma_f32 v102, -0.5, v29, v3
	v_dual_sub_f32 v29, v6, v4 :: v_dual_fmac_f32 v88, 0x3f167918, v27
	v_add_f32_e32 v27, v43, v31
	v_fma_f32 v104, -0.5, v63, v3
	v_sub_f32_e32 v31, v11, v13
	s_delay_alu instid0(VALU_DEP_4) | instskip(SKIP_2) | instid1(VALU_DEP_4)
	v_fmamk_f32 v103, v29, 0x3f737871, v102
	v_dual_fmac_f32 v102, 0xbf737871, v29 :: v_dual_sub_f32 v43, v12, v7
	v_sub_f32_e32 v63, v14, v5
	v_fmamk_f32 v105, v31, 0xbf737871, v104
	v_fmac_f32_e32 v104, 0x3f737871, v31
	v_fmac_f32_e32 v103, 0x3f167918, v31
	;; [unrolled: 1-line block ×3, first 2 shown]
	v_add_f32_e32 v31, v63, v43
	v_fmac_f32_e32 v105, 0x3f167918, v29
	v_fmac_f32_e32 v104, 0xbf167918, v29
	v_add_nc_u32_e32 v100, 0x12c0, v81
	v_add_nc_u32_e32 v107, 0x12d0, v81
	v_fmac_f32_e32 v99, 0x3e9e377a, v23
	v_fmac_f32_e32 v88, 0x3e9e377a, v23
	;; [unrolled: 1-line block ×6, first 2 shown]
	ds_store_2addr_b64 v100, v[108:109], v[112:113] offset1:1
	ds_store_2addr_b64 v107, v[114:115], v[110:111] offset1:1
	ds_store_b64 v81, v[116:117] offset:32
	ds_store_b64 v81, v[118:119] offset:2432
	;; [unrolled: 1-line block ×3, first 2 shown]
	s_and_saveexec_b32 s1, s0
	s_cbranch_execz .LBB0_15
; %bb.14:
	v_dual_add_f32 v23, v19, v17 :: v_dual_mul_f32 v108, 0xbf167918, v102
	v_add_f32_e32 v43, v21, v15
	v_dual_sub_f32 v27, v15, v17 :: v_dual_mul_f32 v118, 0xbf737871, v104
	v_dual_sub_f32 v31, v16, v22 :: v_dual_sub_f32 v110, v19, v21
	s_delay_alu instid0(VALU_DEP_4) | instskip(SKIP_4) | instid1(VALU_DEP_4)
	v_fma_f32 v23, -0.5, v23, v0
	v_sub_f32_e32 v29, v21, v19
	v_dual_sub_f32 v63, v18, v20 :: v_dual_fmac_f32 v108, 0xbf4f1bbd, v87
	v_fma_f32 v43, -0.5, v43, v0
	v_dual_sub_f32 v109, v17, v15 :: v_dual_add_f32 v2, v6, v2
	v_dual_fmamk_f32 v112, v31, 0x3f737871, v23 :: v_dual_add_f32 v27, v29, v27
	v_add_f32_e32 v0, v15, v0
	s_delay_alu instid0(VALU_DEP_3) | instskip(NEXT) | instid1(VALU_DEP_4)
	v_dual_add_f32 v110, v110, v109 :: v_dual_fmamk_f32 v29, v63, 0xbf737871, v43
	v_dual_fmac_f32 v43, 0x3f737871, v63 :: v_dual_add_f32 v2, v11, v2
	v_dual_fmac_f32 v23, 0xbf737871, v31 :: v_dual_mul_f32 v6, 0xbf737871, v105
	s_delay_alu instid0(VALU_DEP_2) | instskip(NEXT) | instid1(VALU_DEP_3)
	v_dual_add_f32 v0, v17, v0 :: v_dual_fmac_f32 v43, 0xbf167918, v31
	v_dual_fmac_f32 v29, 0x3f167918, v31 :: v_dual_add_f32 v2, v13, v2
	s_delay_alu instid0(VALU_DEP_2) | instskip(NEXT) | instid1(VALU_DEP_3)
	v_dual_mul_f32 v11, 0xbf167918, v103 :: v_dual_add_f32 v0, v19, v0
	v_dual_fmac_f32 v43, 0x3e9e377a, v110 :: v_dual_fmac_f32 v6, 0x3e9e377a, v99
	v_fmac_f32_e32 v112, 0x3f167918, v63
	s_delay_alu instid0(VALU_DEP_3) | instskip(NEXT) | instid1(VALU_DEP_4)
	v_dual_fmac_f32 v23, 0xbf167918, v63 :: v_dual_add_f32 v0, v21, v0
	v_dual_add_f32 v2, v4, v2 :: v_dual_fmac_f32 v11, 0x3f4f1bbd, v89
	s_delay_alu instid0(VALU_DEP_4) | instskip(SKIP_1) | instid1(VALU_DEP_3)
	v_add_f32_e32 v114, v43, v6
	v_fmac_f32_e32 v29, 0x3e9e377a, v110
	v_dual_fmac_f32 v118, 0xbe9e377a, v88 :: v_dual_sub_f32 v113, v0, v2
	v_dual_sub_f32 v111, v43, v6 :: v_dual_fmac_f32 v112, 0x3e9e377a, v27
	v_fmac_f32_e32 v23, 0x3e9e377a, v27
	s_delay_alu instid0(VALU_DEP_3) | instskip(NEXT) | instid1(VALU_DEP_3)
	v_dual_add_f32 v115, v29, v118 :: v_dual_add_f32 v116, v2, v0
	v_dual_sub_f32 v109, v112, v108 :: v_dual_add_nc_u32 v0, 0x1c30, v81
	v_add_f32_e32 v112, v112, v108
	s_delay_alu instid0(VALU_DEP_4)
	v_sub_f32_e32 v110, v23, v11
	v_dual_add_f32 v117, v23, v11 :: v_dual_add_nc_u32 v2, 0x1c20, v81
	v_sub_f32_e32 v108, v29, v118
	ds_store_2addr_b64 v0, v[112:113], v[110:111] offset1:1
	ds_store_2addr_b64 v2, v[116:117], v[114:115] offset1:1
	ds_store_b64 v81, v[108:109] offset:7232
.LBB0_15:
	s_wait_alu 0xfffe
	s_or_b32 exec_lo, exec_lo, s1
	v_dual_add_f32 v2, v80, v70 :: v_dual_sub_f32 v23, v69, v79
	v_dual_add_f32 v0, v78, v64 :: v_dual_add_f32 v13, v68, v78
	v_dual_sub_f32 v4, v77, v67 :: v_dual_sub_f32 v11, v68, v80
	s_delay_alu instid0(VALU_DEP_3) | instskip(SKIP_1) | instid1(VALU_DEP_4)
	v_fma_f32 v2, -0.5, v2, v64
	v_sub_f32_e32 v6, v78, v70
	v_dual_fmac_f32 v64, -0.5, v13 :: v_dual_sub_f32 v29, v70, v78
	v_sub_f32_e32 v31, v80, v68
	s_delay_alu instid0(VALU_DEP_4) | instskip(NEXT) | instid1(VALU_DEP_4)
	v_dual_fmamk_f32 v27, v4, 0x3f737871, v2 :: v_dual_add_f32 v0, v70, v0
	v_add_f32_e32 v6, v11, v6
	v_lshl_add_u32 v63, v10, 2, 0
	v_add_f32_e32 v11, v82, v66
	s_delay_alu instid0(VALU_DEP_4) | instskip(SKIP_1) | instid1(VALU_DEP_4)
	v_dual_fmac_f32 v27, 0x3f167918, v23 :: v_dual_add_f32 v0, v80, v0
	v_fmac_f32_e32 v2, 0xbf737871, v4
	v_add_nc_u32_e32 v70, 0xc00, v63
	s_delay_alu instid0(VALU_DEP_4) | instskip(NEXT) | instid1(VALU_DEP_4)
	v_add_f32_e32 v11, v76, v11
	v_dual_fmamk_f32 v13, v23, 0xbf737871, v64 :: v_dual_add_f32 v0, v68, v0
	s_delay_alu instid0(VALU_DEP_4) | instskip(SKIP_1) | instid1(VALU_DEP_4)
	v_fmac_f32_e32 v2, 0xbf167918, v23
	v_dual_fmac_f32 v64, 0x3f737871, v23 :: v_dual_add_f32 v23, v31, v29
	v_add_f32_e32 v11, v74, v11
	v_fmac_f32_e32 v27, 0x3e9e377a, v6
	s_delay_alu instid0(VALU_DEP_4) | instskip(SKIP_4) | instid1(VALU_DEP_4)
	v_fmac_f32_e32 v2, 0x3e9e377a, v6
	v_fmac_f32_e32 v13, 0x3f167918, v4
	v_add_f32_e32 v31, v52, v56
	v_dual_add_f32 v6, v72, v11 :: v_dual_mul_f32 v11, 0x3f737871, v85
	v_add_nc_u32_e32 v69, 0x800, v63
	v_fmac_f32_e32 v13, 0x3e9e377a, v23
	v_dual_sub_f32 v49, v57, v49 :: v_dual_add_nc_u32 v68, 0x200, v63
	s_delay_alu instid0(VALU_DEP_4)
	v_fmac_f32_e32 v11, 0x3e9e377a, v75
	v_fmac_f32_e32 v64, 0xbf167918, v4
	v_mul_f32_e32 v4, 0x3f167918, v84
	v_sub_f32_e32 v78, v0, v6
	v_add_nc_u32_e32 v72, 0x1e00, v63
	v_add_f32_e32 v75, v13, v11
	v_dual_fmac_f32 v64, 0x3e9e377a, v23 :: v_dual_mul_f32 v23, 0x3e9e377a, v73
	v_dual_fmac_f32 v4, 0x3f4f1bbd, v71 :: v_dual_add_f32 v73, v6, v0
	v_sub_f32_e32 v6, v55, v51
	v_fma_f32 v31, -0.5, v31, v44
	s_delay_alu instid0(VALU_DEP_4) | instskip(SKIP_3) | instid1(VALU_DEP_4)
	v_fma_f32 v23, 0x3f737871, v65, -v23
	v_mul_f32_e32 v29, 0x3f4f1bbd, v86
	v_add_f32_e32 v43, v58, v44
	v_add_f32_e32 v74, v27, v4
	v_dual_sub_f32 v79, v27, v4 :: v_dual_add_f32 v76, v64, v23
	s_delay_alu instid0(VALU_DEP_4) | instskip(SKIP_3) | instid1(VALU_DEP_2)
	v_fma_f32 v29, 0x3f167918, v83, -v29
	v_fmamk_f32 v4, v49, 0x3f737871, v31
	v_dual_add_f32 v0, v56, v43 :: v_dual_sub_f32 v27, v58, v56
	v_dual_sub_f32 v43, v50, v52 :: v_dual_sub_f32 v82, v64, v23
	v_dual_add_f32 v77, v2, v29 :: v_dual_add_f32 v0, v52, v0
	v_sub_f32_e32 v80, v13, v11
	s_delay_alu instid0(VALU_DEP_3)
	v_dual_fmac_f32 v4, 0x3f167918, v6 :: v_dual_add_f32 v13, v43, v27
	global_wb scope:SCOPE_SE
	s_wait_dscnt 0x0
	v_add_f32_e32 v0, v50, v0
	v_add_f32_e32 v11, v50, v58
	s_barrier_signal -1
	v_fmac_f32_e32 v4, 0x3e9e377a, v13
	v_sub_f32_e32 v83, v2, v29
	s_barrier_wait -1
	v_dual_fmac_f32 v44, -0.5, v11 :: v_dual_fmac_f32 v31, 0xbf737871, v49
	global_inv scope:SCOPE_SE
	v_dual_add_f32 v26, v34, v26 :: v_dual_add_nc_u32 v65, 0x1400, v63
	v_fmamk_f32 v2, v6, 0xbf737871, v44
	s_delay_alu instid0(VALU_DEP_1) | instskip(SKIP_3) | instid1(VALU_DEP_4)
	v_dual_add_f32 v11, v62, v46 :: v_dual_fmac_f32 v2, 0x3f167918, v49
	v_sub_f32_e32 v27, v52, v50
	v_fmac_f32_e32 v44, 0x3f737871, v6
	v_sub_f32_e32 v23, v56, v58
	v_dual_fmac_f32 v31, 0xbf167918, v6 :: v_dual_add_f32 v6, v48, v11
	s_delay_alu instid0(VALU_DEP_2) | instskip(NEXT) | instid1(VALU_DEP_2)
	v_dual_fmac_f32 v44, 0xbf167918, v49 :: v_dual_add_f32 v11, v27, v23
	v_dual_fmac_f32 v31, 0x3e9e377a, v13 :: v_dual_add_f32 v6, v60, v6
	v_mul_f32_e32 v13, 0x3f167918, v92
	s_delay_alu instid0(VALU_DEP_3) | instskip(NEXT) | instid1(VALU_DEP_4)
	v_fmac_f32_e32 v2, 0x3e9e377a, v11
	v_fmac_f32_e32 v44, 0x3e9e377a, v11
	s_delay_alu instid0(VALU_DEP_4) | instskip(NEXT) | instid1(VALU_DEP_1)
	v_dual_add_f32 v6, v54, v6 :: v_dual_mul_f32 v11, 0x3f737871, v93
	v_dual_add_f32 v84, v6, v0 :: v_dual_fmac_f32 v11, 0x3e9e377a, v97
	s_delay_alu instid0(VALU_DEP_1)
	v_dual_fmac_f32 v13, 0x3f4f1bbd, v96 :: v_dual_add_f32 v92, v2, v11
	v_sub_f32_e32 v97, v2, v11
	v_sub_f32_e32 v11, v35, v41
	v_add_f32_e32 v29, v40, v24
	v_mul_f32_e32 v23, 0x3e9e377a, v95
	v_dual_mul_f32 v27, 0x3f4f1bbd, v94 :: v_dual_sub_f32 v96, v4, v13
	v_sub_f32_e32 v95, v0, v6
	s_delay_alu instid0(VALU_DEP_4) | instskip(NEXT) | instid1(VALU_DEP_4)
	v_add_f32_e32 v0, v36, v29
	v_fma_f32 v23, 0x3f737871, v45, -v23
	s_delay_alu instid0(VALU_DEP_4)
	v_fma_f32 v27, 0x3f167918, v90, -v27
	v_add_f32_e32 v85, v4, v13
	v_add_f32_e32 v43, v42, v36
	v_dual_sub_f32 v29, v39, v37 :: v_dual_add_f32 v4, v38, v40
	v_dual_add_f32 v93, v44, v23 :: v_dual_add_f32 v0, v42, v0
	v_sub_f32_e32 v108, v44, v23
	s_delay_alu instid0(VALU_DEP_4)
	v_fma_f32 v6, -0.5, v43, v24
	v_sub_f32_e32 v13, v40, v36
	v_fmac_f32_e32 v24, -0.5, v4
	v_add_f32_e32 v0, v38, v0
	v_dual_sub_f32 v23, v38, v42 :: v_dual_add_f32 v94, v31, v27
	v_dual_fmamk_f32 v2, v29, 0x3f737871, v6 :: v_dual_sub_f32 v109, v31, v27
	v_fmac_f32_e32 v6, 0xbf737871, v29
	s_delay_alu instid0(VALU_DEP_3) | instskip(NEXT) | instid1(VALU_DEP_3)
	v_dual_add_f32 v4, v23, v13 :: v_dual_sub_f32 v23, v36, v40
	v_dual_sub_f32 v27, v42, v38 :: v_dual_fmac_f32 v2, 0x3f167918, v11
	s_delay_alu instid0(VALU_DEP_3) | instskip(SKIP_2) | instid1(VALU_DEP_4)
	v_fmac_f32_e32 v6, 0xbf167918, v11
	v_fmamk_f32 v13, v11, 0xbf737871, v24
	v_fmac_f32_e32 v24, 0x3f737871, v11
	v_add_f32_e32 v11, v27, v23
	v_dual_add_f32 v23, v32, v26 :: v_dual_fmac_f32 v2, 0x3e9e377a, v4
	s_delay_alu instid0(VALU_DEP_3) | instskip(SKIP_1) | instid1(VALU_DEP_3)
	v_fmac_f32_e32 v24, 0xbf167918, v29
	v_fmac_f32_e32 v6, 0x3e9e377a, v4
	v_dual_add_f32 v4, v30, v23 :: v_dual_fmac_f32 v13, 0x3f167918, v29
	s_delay_alu instid0(VALU_DEP_3) | instskip(NEXT) | instid1(VALU_DEP_2)
	v_fmac_f32_e32 v24, 0x3e9e377a, v11
	v_dual_add_f32 v4, v28, v4 :: v_dual_fmac_f32 v13, 0x3e9e377a, v11
	v_mul_f32_e32 v11, 0x3e9e377a, v101
	ds_load_2addr_b32 v[27:28], v63 offset1:60
	v_add_f32_e32 v110, v4, v0
	v_sub_f32_e32 v115, v0, v4
	v_fma_f32 v90, 0x3f737871, v25, -v11
	v_add_nc_u32_e32 v11, 0x400, v63
	v_mul_f32_e32 v62, 0x3f167918, v53
	v_add_nc_u32_e32 v71, 0x1800, v63
	ds_load_2addr_b32 v[53:54], v65 offset0:160 offset1:220
	v_sub_f32_e32 v118, v24, v90
	v_add_f32_e32 v113, v24, v90
	v_dual_mul_f32 v23, 0x3f4f1bbd, v98 :: v_dual_fmac_f32 v62, 0x3f4f1bbd, v33
	v_mul_f32_e32 v86, 0x3f737871, v59
	v_add_nc_u32_e32 v67, 0x1c00, v63
	ds_load_2addr_b32 v[59:60], v11 offset0:104 offset1:164
	v_fma_f32 v98, 0x3f167918, v47, -v23
	v_sub_f32_e32 v116, v2, v62
	v_add_f32_e32 v111, v2, v62
	v_fmac_f32_e32 v86, 0x3e9e377a, v106
	s_delay_alu instid0(VALU_DEP_4) | instskip(SKIP_2) | instid1(VALU_DEP_4)
	v_dual_add_f32 v114, v6, v98 :: v_dual_add_nc_u32 v23, 0xa00, v63
	v_add_nc_u32_e32 v66, 0x1000, v63
	v_dual_sub_f32 v119, v6, v98 :: v_dual_add_nc_u32 v64, 0x600, v63
	v_add_f32_e32 v112, v13, v86
	ds_load_2addr_b32 v[57:58], v23 offset0:80 offset1:140
	v_sub_f32_e32 v117, v13, v86
	ds_load_2addr_b32 v[55:56], v66 offset0:56 offset1:116
	ds_load_2addr_b32 v[31:32], v67 offset0:8 offset1:68
	;; [unrolled: 1-line block ×14, first 2 shown]
	v_add_nc_u32_e32 v6, 0xb4, v10
	global_wb scope:SCOPE_SE
	s_wait_dscnt 0x0
	s_barrier_signal -1
	s_barrier_wait -1
	global_inv scope:SCOPE_SE
	ds_store_2addr_b64 v81, v[73:74], v[75:76] offset1:1
	ds_store_2addr_b64 v81, v[77:78], v[79:80] offset0:2 offset1:3
	ds_store_2addr_b64 v91, v[84:85], v[92:93] offset1:1
	ds_store_2addr_b64 v61, v[94:95], v[96:97] offset1:1
	;; [unrolled: 1-line block ×4, first 2 shown]
	ds_store_b64 v81, v[82:83] offset:32
	ds_store_b64 v81, v[108:109] offset:2432
	;; [unrolled: 1-line block ×3, first 2 shown]
	s_and_saveexec_b32 s1, s0
	s_cbranch_execz .LBB0_17
; %bb.16:
	v_dual_add_f32 v2, v20, v18 :: v_dual_sub_f32 v17, v17, v19
	v_add_f32_e32 v0, v16, v1
	v_dual_sub_f32 v4, v15, v21 :: v_dual_sub_f32 v13, v16, v18
	s_delay_alu instid0(VALU_DEP_3) | instskip(SKIP_1) | instid1(VALU_DEP_4)
	v_fma_f32 v21, -0.5, v2, v1
	v_sub_f32_e32 v15, v22, v20
	v_dual_add_f32 v0, v18, v0 :: v_dual_add_f32 v3, v7, v3
	s_delay_alu instid0(VALU_DEP_3) | instskip(SKIP_1) | instid1(VALU_DEP_2)
	v_dual_fmamk_f32 v19, v4, 0x3f737871, v21 :: v_dual_add_f32 v2, v22, v16
	v_fmac_f32_e32 v21, 0xbf737871, v4
	v_dual_fmac_f32 v19, 0x3f167918, v17 :: v_dual_add_f32 v0, v20, v0
	s_delay_alu instid0(VALU_DEP_3) | instskip(SKIP_1) | instid1(VALU_DEP_2)
	v_dual_fmac_f32 v1, -0.5, v2 :: v_dual_add_f32 v2, v15, v13
	v_dual_sub_f32 v13, v18, v16 :: v_dual_sub_f32 v16, v20, v22
	v_dual_add_f32 v0, v22, v0 :: v_dual_fmamk_f32 v15, v17, 0xbf737871, v1
	v_fmac_f32_e32 v1, 0x3f737871, v17
	v_fmac_f32_e32 v21, 0xbf167918, v17
	s_delay_alu instid0(VALU_DEP_4) | instskip(SKIP_1) | instid1(VALU_DEP_4)
	v_dual_add_f32 v7, v16, v13 :: v_dual_mul_f32 v16, 0x3f737871, v99
	v_fmac_f32_e32 v19, 0x3e9e377a, v2
	v_fmac_f32_e32 v1, 0xbf167918, v4
	v_mul_u32_u24_e32 v20, 10, v6
	s_delay_alu instid0(VALU_DEP_2) | instskip(SKIP_3) | instid1(VALU_DEP_1)
	v_dual_fmac_f32 v16, 0x3e9e377a, v105 :: v_dual_fmac_f32 v1, 0x3e9e377a, v7
	v_fmac_f32_e32 v21, 0x3e9e377a, v2
	v_fmac_f32_e32 v15, 0x3f167918, v4
	v_dual_mul_f32 v4, 0x3f4f1bbd, v102 :: v_dual_add_f32 v3, v12, v3
	v_fma_f32 v18, 0x3f167918, v87, -v4
	s_delay_alu instid0(VALU_DEP_2) | instskip(NEXT) | instid1(VALU_DEP_1)
	v_dual_add_f32 v2, v14, v3 :: v_dual_mul_f32 v3, 0x3e9e377a, v104
	v_add_f32_e32 v13, v5, v2
	s_delay_alu instid0(VALU_DEP_2) | instskip(NEXT) | instid1(VALU_DEP_2)
	v_fma_f32 v17, 0x3f737871, v88, -v3
	v_dual_add_f32 v2, v13, v0 :: v_dual_sub_f32 v13, v0, v13
	s_delay_alu instid0(VALU_DEP_2) | instskip(SKIP_3) | instid1(VALU_DEP_3)
	v_sub_f32_e32 v0, v1, v17
	v_dual_add_f32 v12, v21, v18 :: v_dual_fmac_f32 v15, 0x3e9e377a, v7
	v_mul_f32_e32 v7, 0x3f167918, v89
	v_add_f32_e32 v5, v1, v17
	v_dual_sub_f32 v1, v21, v18 :: v_dual_add_f32 v4, v15, v16
	s_delay_alu instid0(VALU_DEP_3) | instskip(SKIP_1) | instid1(VALU_DEP_2)
	v_fmac_f32_e32 v7, 0x3f4f1bbd, v103
	v_sub_f32_e32 v15, v15, v16
	v_add_f32_e32 v3, v19, v7
	v_sub_f32_e32 v14, v19, v7
	v_lshl_add_u32 v7, v20, 2, 0
	ds_store_2addr_b64 v7, v[2:3], v[4:5] offset1:1
	ds_store_2addr_b64 v7, v[12:13], v[14:15] offset0:2 offset1:3
	ds_store_b64 v7, v[0:1] offset:32
.LBB0_17:
	s_wait_alu 0xfffe
	s_or_b32 exec_lo, exec_lo, s1
	v_and_b32_e32 v0, 0xff, v10
	v_add_nc_u16 v1, v10, 60
	global_wb scope:SCOPE_SE
	s_wait_dscnt 0x0
	s_barrier_signal -1
	s_barrier_wait -1
	v_mul_lo_u16 v0, 0xcd, v0
	global_inv scope:SCOPE_SE
	v_add_nc_u16 v7, v10, 0x78
	v_lshrrev_b16 v17, 11, v0
	v_and_b32_e32 v0, 0xff, v1
	s_delay_alu instid0(VALU_DEP_2) | instskip(NEXT) | instid1(VALU_DEP_2)
	v_mul_lo_u16 v2, v17, 10
	v_mul_lo_u16 v0, 0xcd, v0
	s_delay_alu instid0(VALU_DEP_2) | instskip(NEXT) | instid1(VALU_DEP_2)
	v_sub_nc_u16 v2, v10, v2
	v_lshrrev_b16 v16, 11, v0
	s_delay_alu instid0(VALU_DEP_2) | instskip(NEXT) | instid1(VALU_DEP_2)
	v_and_b32_e32 v18, 0xff, v2
	v_mul_lo_u16 v0, v16, 10
	v_and_b32_e32 v16, 0xffff, v16
	s_delay_alu instid0(VALU_DEP_3) | instskip(NEXT) | instid1(VALU_DEP_3)
	v_mul_u32_u24_e32 v2, 5, v18
	v_sub_nc_u16 v0, v1, v0
	s_delay_alu instid0(VALU_DEP_2) | instskip(NEXT) | instid1(VALU_DEP_2)
	v_lshlrev_b32_e32 v4, 3, v2
	v_and_b32_e32 v19, 0xff, v0
	s_clause 0x1
	global_load_b128 v[0:3], v4, s[4:5]
	global_load_b128 v[82:85], v4, s[4:5] offset:16
	v_mul_u32_u24_e32 v5, 5, v19
	v_add_nc_u32_e32 v61, 0x12c, v10
	s_delay_alu instid0(VALU_DEP_2)
	v_lshlrev_b32_e32 v5, 3, v5
	s_clause 0x1
	global_load_b128 v[78:81], v5, s[4:5]
	global_load_b128 v[86:89], v5, s[4:5] offset:16
	v_and_b32_e32 v12, 0xff, v6
	v_and_b32_e32 v15, 0xff, v7
	v_add_nc_u32_e32 v62, 0xf0, v10
	s_delay_alu instid0(VALU_DEP_3) | instskip(NEXT) | instid1(VALU_DEP_1)
	v_mul_lo_u16 v13, 0xcd, v12
	v_lshrrev_b16 v20, 11, v13
	s_delay_alu instid0(VALU_DEP_4) | instskip(NEXT) | instid1(VALU_DEP_2)
	v_mul_lo_u16 v13, 0xcd, v15
	v_mul_lo_u16 v14, v20, 10
	s_delay_alu instid0(VALU_DEP_2) | instskip(NEXT) | instid1(VALU_DEP_2)
	v_lshrrev_b16 v22, 11, v13
	v_sub_nc_u16 v13, v6, v14
	s_delay_alu instid0(VALU_DEP_2) | instskip(NEXT) | instid1(VALU_DEP_2)
	v_mul_lo_u16 v14, v22, 10
	v_and_b32_e32 v21, 0xff, v13
	s_delay_alu instid0(VALU_DEP_2) | instskip(NEXT) | instid1(VALU_DEP_2)
	v_sub_nc_u16 v13, v7, v14
	v_mul_u32_u24_e32 v14, 5, v21
	s_delay_alu instid0(VALU_DEP_2) | instskip(NEXT) | instid1(VALU_DEP_2)
	v_and_b32_e32 v24, 0xff, v13
	v_lshlrev_b32_e32 v77, 3, v14
	s_delay_alu instid0(VALU_DEP_2)
	v_mul_u32_u24_e32 v13, 5, v24
	v_and_b32_e32 v14, 0xffff, v62
	s_clause 0x1
	global_load_b128 v[90:93], v77, s[4:5] offset:16
	global_load_b128 v[98:101], v77, s[4:5]
	v_lshlrev_b32_e32 v128, 3, v13
	v_and_b32_e32 v13, 0xffff, v61
	v_mul_u32_u24_e32 v73, 0xcccd, v14
	s_clause 0x1
	global_load_b128 v[94:97], v128, s[4:5] offset:16
	global_load_b128 v[102:105], v128, s[4:5]
	v_mul_u32_u24_e32 v75, 0xcccd, v13
	v_lshrrev_b32_e32 v74, 19, v73
	s_delay_alu instid0(VALU_DEP_2) | instskip(NEXT) | instid1(VALU_DEP_2)
	v_lshrrev_b32_e32 v73, 19, v75
	v_mul_lo_u16 v75, v74, 10
	s_delay_alu instid0(VALU_DEP_2) | instskip(NEXT) | instid1(VALU_DEP_2)
	v_mul_lo_u16 v76, v73, 10
	v_sub_nc_u16 v75, v62, v75
	s_delay_alu instid0(VALU_DEP_2) | instskip(NEXT) | instid1(VALU_DEP_2)
	v_sub_nc_u16 v106, v61, v76
	v_and_b32_e32 v76, 0xffff, v75
	s_delay_alu instid0(VALU_DEP_2) | instskip(NEXT) | instid1(VALU_DEP_2)
	v_and_b32_e32 v75, 0xffff, v106
	v_mul_u32_u24_e32 v106, 5, v76
	s_delay_alu instid0(VALU_DEP_2) | instskip(NEXT) | instid1(VALU_DEP_2)
	v_mul_u32_u24_e32 v107, 5, v75
	v_lshlrev_b32_e32 v130, 3, v106
	s_delay_alu instid0(VALU_DEP_2)
	v_lshlrev_b32_e32 v132, 3, v107
	s_clause 0x9
	global_load_b64 v[122:123], v77, s[4:5] offset:32
	global_load_b128 v[106:109], v130, s[4:5]
	global_load_b128 v[110:113], v132, s[4:5]
	global_load_b128 v[114:117], v130, s[4:5] offset:16
	global_load_b128 v[118:121], v132, s[4:5] offset:16
	global_load_b64 v[124:125], v4, s[4:5] offset:32
	global_load_b64 v[126:127], v5, s[4:5] offset:32
	global_load_b64 v[128:129], v128, s[4:5] offset:32
	global_load_b64 v[130:131], v130, s[4:5] offset:32
	global_load_b64 v[132:133], v132, s[4:5] offset:32
	ds_load_2addr_b32 v[4:5], v11 offset0:104 offset1:164
	ds_load_2addr_b32 v[134:135], v23 offset0:80 offset1:140
	;; [unrolled: 1-line block ×3, first 2 shown]
	s_wait_loadcnt_dscnt 0x1102
	v_mul_f32_e32 v77, v4, v1
	s_wait_dscnt 0x1
	v_dual_mul_f32 v1, v59, v1 :: v_dual_mul_f32 v138, v134, v3
	v_mul_f32_e32 v3, v57, v3
	s_wait_loadcnt_dscnt 0x1000
	v_dual_mul_f32 v140, v136, v83 :: v_dual_fmac_f32 v77, v59, v0
	s_delay_alu instid0(VALU_DEP_3)
	v_fma_f32 v59, v4, v0, -v1
	ds_load_2addr_b32 v[0:1], v65 offset0:160 offset1:220
	v_fmac_f32_e32 v138, v57, v2
	v_fma_f32 v134, v134, v2, -v3
	v_fmac_f32_e32 v140, v55, v82
	v_mul_u32_u24_e32 v13, 0x8889, v13
	s_wait_loadcnt 0xf
	v_mul_f32_e32 v57, v5, v79
	v_dual_mul_f32 v2, v60, v79 :: v_dual_mul_f32 v139, v135, v81
	s_wait_loadcnt 0xe
	v_dual_mul_f32 v79, v58, v81 :: v_dual_mul_f32 v142, v137, v87
	s_delay_alu instid0(VALU_DEP_3) | instskip(NEXT) | instid1(VALU_DEP_3)
	v_fmac_f32_e32 v57, v60, v78
	v_fma_f32 v60, v5, v78, -v2
	ds_load_2addr_b32 v[4:5], v71 offset0:24 offset1:84
	ds_load_2addr_b32 v[2:3], v66 offset0:176 offset1:236
	v_fmac_f32_e32 v139, v58, v80
	v_fma_f32 v135, v135, v80, -v79
	ds_load_2addr_b32 v[79:80], v64 offset0:96 offset1:156
	v_mul_f32_e32 v58, v55, v83
	v_mul_f32_e32 v78, v53, v85
	v_fmac_f32_e32 v142, v56, v86
	s_wait_dscnt 0x3
	v_mul_f32_e32 v141, v0, v85
	v_mul_f32_e32 v144, v1, v89
	v_fma_f32 v136, v136, v82, -v58
	v_fma_f32 v143, v0, v84, -v78
	s_delay_alu instid0(VALU_DEP_4)
	v_dual_mul_f32 v0, v56, v87 :: v_dual_fmac_f32 v141, v53, v84
	ds_load_2addr_b32 v[81:82], v70 offset0:72 offset1:132
	v_mul_f32_e32 v53, v54, v89
	ds_load_2addr_b32 v[83:84], v69 offset0:88 offset1:148
	v_mul_lo_u16 v12, 0x89, v12
	v_mul_lo_u16 v15, 0x89, v15
	v_lshrrev_b32_e32 v13, 21, v13
	v_fma_f32 v146, v1, v88, -v53
	s_delay_alu instid0(VALU_DEP_4) | instskip(NEXT) | instid1(VALU_DEP_4)
	v_lshrrev_b16 v12, 13, v12
	v_lshrrev_b16 v15, 13, v15
	s_delay_alu instid0(VALU_DEP_4) | instskip(NEXT) | instid1(VALU_DEP_3)
	v_mul_lo_u16 v13, v13, 60
	v_mul_lo_u16 v12, v12, 60
	s_delay_alu instid0(VALU_DEP_3) | instskip(NEXT) | instid1(VALU_DEP_3)
	v_mul_lo_u16 v15, v15, 60
	v_sub_nc_u16 v13, v61, v13
	s_delay_alu instid0(VALU_DEP_3) | instskip(NEXT) | instid1(VALU_DEP_3)
	v_sub_nc_u16 v6, v6, v12
	v_sub_nc_u16 v7, v7, v15
	s_wait_loadcnt_dscnt 0xd04
	v_mul_f32_e32 v147, v5, v93
	v_fma_f32 v137, v137, v86, -v0
	v_dual_mul_f32 v0, v52, v91 :: v_dual_mul_f32 v1, v50, v93
	s_wait_dscnt 0x3
	v_mul_f32_e32 v145, v3, v91
	v_fmac_f32_e32 v147, v50, v92
	v_fmac_f32_e32 v144, v54, v88
	ds_load_2addr_b32 v[54:55], v70 offset0:192 offset1:252
	v_fma_f32 v148, v3, v90, -v0
	v_fmac_f32_e32 v145, v52, v90
	v_fma_f32 v150, v5, v92, -v1
	s_wait_loadcnt 0xb
	v_dual_mul_f32 v0, v51, v95 :: v_dual_mul_f32 v1, v49, v97
	s_wait_dscnt 0x3
	v_mul_f32_e32 v56, v80, v99
	v_mul_f32_e32 v149, v2, v95
	;; [unrolled: 1-line block ×3, first 2 shown]
	v_fma_f32 v97, v2, v94, -v0
	ds_load_2addr_b32 v[91:92], v67 offset0:128 offset1:188
	v_fmac_f32_e32 v56, v48, v98
	v_dual_fmac_f32 v149, v51, v94 :: v_dual_mul_f32 v0, v48, v99
	v_fmac_f32_e32 v95, v49, v96
	v_fma_f32 v96, v4, v96, -v1
	v_mul_f32_e32 v1, v46, v101
	ds_load_2addr_b32 v[85:86], v65 offset0:40 offset1:100
	s_wait_dscnt 0x4
	v_mul_f32_e32 v99, v82, v101
	s_wait_loadcnt 0xa
	v_mul_f32_e32 v53, v79, v103
	v_fma_f32 v78, v80, v98, -v0
	v_fma_f32 v80, v82, v100, -v1
	v_mul_f32_e32 v82, v81, v105
	ds_load_2addr_b32 v[87:88], v71 offset0:144 offset1:204
	ds_load_2addr_b32 v[89:90], v67 offset0:8 offset1:68
	;; [unrolled: 1-line block ×3, first 2 shown]
	v_mul_f32_e32 v0, v47, v103
	v_fmac_f32_e32 v82, v45, v104
	v_dual_fmac_f32 v99, v46, v100 :: v_dual_mul_f32 v46, v45, v105
	s_wait_loadcnt_dscnt 0x805
	v_dual_fmac_f32 v53, v47, v102 :: v_dual_mul_f32 v50, v54, v109
	ds_load_2addr_b32 v[4:5], v63 offset1:60
	v_fma_f32 v58, v79, v102, -v0
	v_fma_f32 v79, v81, v104, -v46
	v_mul_f32_e32 v47, v83, v107
	v_mul_f32_e32 v46, v43, v107
	ds_load_2addr_b32 v[2:3], v63 offset0:120 offset1:180
	s_wait_dscnt 0x6
	v_dual_mul_f32 v81, v92, v123 :: v_dual_fmac_f32 v50, v41, v108
	v_mul_f32_e32 v49, v41, v109
	v_fma_f32 v48, v83, v106, -v46
	s_wait_loadcnt 0x5
	v_dual_mul_f32 v41, v44, v111 :: v_dual_mul_f32 v100, v38, v121
	v_dual_mul_f32 v46, v42, v113 :: v_dual_fmac_f32 v47, v43, v106
	v_dual_mul_f32 v43, v55, v113 :: v_dual_mul_f32 v98, v40, v119
	v_mul_f32_e32 v45, v84, v111
	v_mul_f32_e32 v51, v34, v123
	s_wait_loadcnt 0x2
	v_dual_mul_f32 v83, v39, v115 :: v_dual_mul_f32 v106, v33, v129
	v_fma_f32 v41, v84, v110, -v41
	v_dual_mul_f32 v84, v37, v117 :: v_dual_fmac_f32 v43, v42, v112
	v_mul_f32_e32 v104, v32, v127
	s_wait_dscnt 0x5
	v_mul_f32_e32 v42, v86, v119
	v_fma_f32 v52, v54, v108, -v49
	s_wait_dscnt 0x4
	v_dual_mul_f32 v49, v85, v115 :: v_dual_mul_f32 v54, v87, v117
	v_dual_fmac_f32 v45, v44, v110 :: v_dual_mul_f32 v102, v31, v125
	v_fma_f32 v46, v55, v112, -v46
	v_mul_f32_e32 v44, v88, v121
	s_wait_dscnt 0x3
	v_dual_mul_f32 v101, v89, v125 :: v_dual_fmac_f32 v42, v40, v118
	v_dual_mul_f32 v103, v90, v127 :: v_dual_fmac_f32 v54, v37, v116
	v_fmac_f32_e32 v81, v34, v122
	v_fma_f32 v92, v92, v122, -v51
	v_dual_mul_f32 v105, v91, v129 :: v_dual_fmac_f32 v44, v38, v120
	v_fma_f32 v51, v85, v114, -v83
	v_fma_f32 v55, v87, v116, -v84
	s_wait_loadcnt_dscnt 0x2
	v_dual_mul_f32 v83, v35, v131 :: v_dual_mul_f32 v34, v94, v133
	v_fmac_f32_e32 v49, v39, v114
	v_dual_mul_f32 v39, v93, v131 :: v_dual_mul_f32 v84, v36, v133
	v_fma_f32 v37, v86, v118, -v98
	v_fma_f32 v38, v88, v120, -v100
	v_dual_fmac_f32 v101, v31, v124 :: v_dual_add_f32 v86, v134, v143
	v_fma_f32 v40, v89, v124, -v102
	v_dual_fmac_f32 v103, v32, v126 :: v_dual_add_f32 v88, v77, v140
	;; [unrolled: 2-line block ×3, first 2 shown]
	v_fma_f32 v33, v91, v128, -v106
	v_fmac_f32_e32 v34, v36, v132
	v_fma_f32 v31, v94, v132, -v84
	v_dual_add_f32 v36, v138, v141 :: v_dual_fmac_f32 v39, v35, v130
	v_dual_add_f32 v90, v145, v81 :: v_dual_add_f32 v35, v27, v138
	v_sub_f32_e32 v94, v145, v81
	s_wait_dscnt 0x1
	v_add_f32_e32 v84, v4, v134
	v_fma_f32 v32, v93, v130, -v83
	v_dual_add_f32 v89, v59, v136 :: v_dual_add_f32 v102, v30, v99
	v_dual_add_f32 v93, v148, v92 :: v_dual_fmac_f32 v56, -0.5, v90
	v_dual_sub_f32 v83, v134, v143 :: v_dual_sub_f32 v106, v80, v150
	v_dual_sub_f32 v87, v138, v141 :: v_dual_add_f32 v104, v99, v147
	v_dual_sub_f32 v91, v148, v92 :: v_dual_add_f32 v112, v135, v146
	v_dual_add_f32 v100, v78, v148 :: v_dual_sub_f32 v99, v99, v147
	s_wait_dscnt 0x0
	v_dual_add_f32 v107, v3, v80 :: v_dual_add_f32 v80, v80, v150
	v_add_f32_e32 v108, v140, v101
	v_dual_sub_f32 v109, v136, v40 :: v_dual_add_f32 v90, v57, v142
	v_dual_add_f32 v110, v136, v40 :: v_dual_add_f32 v35, v35, v141
	v_dual_sub_f32 v111, v140, v101 :: v_dual_add_f32 v40, v89, v40
	v_dual_add_f32 v84, v84, v143 :: v_dual_sub_f32 v113, v139, v144
	v_fma_f32 v27, -0.5, v36, v27
	v_fma_f32 v4, -0.5, v86, v4
	v_dual_add_f32 v36, v88, v101 :: v_dual_add_f32 v101, v5, v135
	v_add_f32_e32 v86, v28, v139
	v_add_f32_e32 v88, v139, v144
	v_dual_fmac_f32 v78, -0.5, v93 :: v_dual_sub_f32 v117, v142, v103
	v_dual_add_f32 v93, v142, v103 :: v_dual_sub_f32 v114, v137, v85
	v_add_f32_e32 v119, v82, v95
	v_dual_add_f32 v115, v60, v137 :: v_dual_add_f32 v118, v29, v82
	v_dual_add_f32 v116, v137, v85 :: v_dual_add_f32 v121, v2, v79
	v_dual_sub_f32 v120, v79, v96 :: v_dual_add_f32 v123, v149, v105
	v_dual_add_f32 v79, v79, v96 :: v_dual_sub_f32 v82, v82, v95
	v_sub_f32_e32 v124, v97, v33
	v_dual_add_f32 v125, v58, v97 :: v_dual_fmac_f32 v30, -0.5, v104
	v_add_f32_e32 v97, v97, v33
	v_dual_sub_f32 v89, v135, v146 :: v_dual_add_f32 v122, v53, v149
	v_dual_fmac_f32 v3, -0.5, v80 :: v_dual_sub_f32 v126, v149, v105
	v_dual_fmac_f32 v77, -0.5, v108 :: v_dual_add_f32 v102, v102, v147
	v_fmac_f32_e32 v59, -0.5, v110
	v_add_f32_e32 v104, v107, v150
	v_dual_add_f32 v80, v98, v81 :: v_dual_add_f32 v81, v100, v92
	v_fmamk_f32 v92, v83, 0xbf5db3d7, v27
	v_fmac_f32_e32 v27, 0x3f5db3d7, v83
	v_fmamk_f32 v83, v87, 0x3f5db3d7, v4
	v_dual_fmac_f32 v4, 0xbf5db3d7, v87 :: v_dual_add_f32 v87, v35, v36
	v_sub_f32_e32 v35, v35, v36
	v_dual_add_f32 v36, v84, v40 :: v_dual_fmac_f32 v57, -0.5, v93
	v_dual_sub_f32 v40, v84, v40 :: v_dual_add_f32 v85, v115, v85
	v_dual_add_f32 v84, v86, v144 :: v_dual_fmac_f32 v53, -0.5, v123
	v_fmac_f32_e32 v28, -0.5, v88
	v_dual_add_f32 v86, v101, v146 :: v_dual_fmac_f32 v5, -0.5, v112
	v_add_f32_e32 v88, v90, v103
	v_dual_fmac_f32 v60, -0.5, v116 :: v_dual_add_f32 v33, v125, v33
	v_dual_add_f32 v90, v118, v95 :: v_dual_add_f32 v93, v121, v96
	v_fmac_f32_e32 v58, -0.5, v97
	v_fma_f32 v29, -0.5, v119, v29
	v_fma_f32 v2, -0.5, v79, v2
	v_fmamk_f32 v79, v91, 0xbf5db3d7, v56
	v_dual_fmac_f32 v56, 0x3f5db3d7, v91 :: v_dual_add_f32 v97, v102, v80
	v_dual_fmamk_f32 v91, v94, 0x3f5db3d7, v78 :: v_dual_fmamk_f32 v96, v99, 0x3f5db3d7, v3
	v_dual_add_f32 v95, v122, v105 :: v_dual_fmac_f32 v78, 0xbf5db3d7, v94
	v_dual_add_f32 v103, v104, v81 :: v_dual_fmamk_f32 v94, v106, 0xbf5db3d7, v30
	v_fmac_f32_e32 v30, 0x3f5db3d7, v106
	v_dual_fmac_f32 v3, 0xbf5db3d7, v99 :: v_dual_sub_f32 v80, v102, v80
	v_fmamk_f32 v99, v111, 0x3f5db3d7, v59
	v_dual_fmamk_f32 v98, v109, 0xbf5db3d7, v77 :: v_dual_add_f32 v105, v84, v88
	v_fmac_f32_e32 v77, 0x3f5db3d7, v109
	v_fmac_f32_e32 v59, 0xbf5db3d7, v111
	v_fmamk_f32 v101, v114, 0xbf5db3d7, v57
	v_dual_fmac_f32 v57, 0x3f5db3d7, v114 :: v_dual_fmamk_f32 v102, v117, 0x3f5db3d7, v60
	v_fmac_f32_e32 v60, 0xbf5db3d7, v117
	v_add_f32_e32 v106, v86, v85
	v_dual_sub_f32 v84, v84, v88 :: v_dual_sub_f32 v107, v86, v85
	v_fmamk_f32 v85, v120, 0xbf5db3d7, v29
	v_dual_fmac_f32 v29, 0x3f5db3d7, v120 :: v_dual_fmamk_f32 v86, v82, 0x3f5db3d7, v2
	v_dual_fmac_f32 v2, 0xbf5db3d7, v82 :: v_dual_add_f32 v109, v93, v33
	v_dual_fmamk_f32 v82, v124, 0xbf5db3d7, v53 :: v_dual_sub_f32 v33, v93, v33
	v_dual_fmac_f32 v53, 0x3f5db3d7, v124 :: v_dual_fmamk_f32 v88, v126, 0x3f5db3d7, v58
	v_dual_fmac_f32 v58, 0xbf5db3d7, v126 :: v_dual_mul_f32 v93, 0xbf5db3d7, v91
	v_mul_f32_e32 v91, 0.5, v91
	ds_load_2addr_b32 v[0:1], v68 offset0:112 offset1:172
	v_fmamk_f32 v100, v89, 0xbf5db3d7, v28
	v_dual_fmac_f32 v28, 0x3f5db3d7, v89 :: v_dual_fmamk_f32 v89, v113, 0x3f5db3d7, v5
	v_dual_fmac_f32 v5, 0xbf5db3d7, v113 :: v_dual_add_f32 v108, v90, v95
	v_dual_sub_f32 v90, v90, v95 :: v_dual_mul_f32 v113, 0xbf5db3d7, v60
	v_mul_f32_e32 v95, 0xbf5db3d7, v78
	v_mul_f32_e32 v78, -0.5, v78
	v_mul_f32_e32 v110, 0xbf5db3d7, v99
	v_dual_mul_f32 v111, 0xbf5db3d7, v59 :: v_dual_mul_f32 v112, 0xbf5db3d7, v102
	v_dual_mul_f32 v59, -0.5, v59 :: v_dual_mul_f32 v60, -0.5, v60
	v_dual_mul_f32 v114, 0xbf5db3d7, v88 :: v_dual_fmac_f32 v93, 0.5, v79
	v_dual_fmac_f32 v91, 0x3f5db3d7, v79 :: v_dual_mul_f32 v88, 0.5, v88
	v_mul_f32_e32 v79, 0xbf5db3d7, v58
	v_dual_mul_f32 v58, -0.5, v58 :: v_dual_fmac_f32 v95, -0.5, v56
	v_dual_fmac_f32 v78, 0x3f5db3d7, v56 :: v_dual_fmac_f32 v111, -0.5, v77
	v_fmac_f32_e32 v60, 0x3f5db3d7, v57
	s_delay_alu instid0(VALU_DEP_3) | instskip(SKIP_3) | instid1(VALU_DEP_3)
	v_fmac_f32_e32 v58, 0x3f5db3d7, v53
	v_dual_fmac_f32 v110, 0.5, v98 :: v_dual_fmac_f32 v59, 0x3f5db3d7, v77
	v_dual_fmac_f32 v113, -0.5, v57 :: v_dual_fmac_f32 v114, 0.5, v82
	v_dual_fmac_f32 v79, -0.5, v53 :: v_dual_fmac_f32 v88, 0x3f5db3d7, v82
	v_dual_add_f32 v53, v94, v93 :: v_dual_add_f32 v82, v92, v110
	v_dual_add_f32 v56, v30, v95 :: v_dual_add_f32 v115, v3, v78
	v_dual_sub_f32 v77, v94, v93 :: v_dual_sub_f32 v92, v92, v110
	v_dual_sub_f32 v30, v30, v95 :: v_dual_add_f32 v119, v5, v60
	v_dual_add_f32 v93, v27, v111 :: v_dual_sub_f32 v60, v5, v60
	v_sub_f32_e32 v121, v2, v58
	v_add_f32_e32 v120, v2, v58
	v_add_f32_e32 v2, v50, v54
	v_dual_sub_f32 v122, v96, v91 :: v_dual_sub_f32 v123, v3, v78
	v_dual_add_f32 v58, v25, v50 :: v_dual_add_f32 v3, v52, v55
	s_delay_alu instid0(VALU_DEP_3)
	v_fma_f32 v2, -0.5, v2, v25
	v_sub_f32_e32 v25, v52, v55
	s_wait_dscnt 0x0
	v_add_f32_e32 v52, v0, v52
	v_add_f32_e32 v58, v58, v54
	v_fma_f32 v0, -0.5, v3, v0
	v_dual_sub_f32 v3, v50, v54 :: v_dual_fmamk_f32 v50, v25, 0xbf5db3d7, v2
	v_dual_fmac_f32 v2, 0x3f5db3d7, v25 :: v_dual_add_f32 v25, v51, v32
	v_add_f32_e32 v52, v52, v55
	s_delay_alu instid0(VALU_DEP_3) | instskip(SKIP_1) | instid1(VALU_DEP_4)
	v_dual_fmamk_f32 v54, v3, 0x3f5db3d7, v0 :: v_dual_add_f32 v55, v49, v39
	v_add_f32_e32 v78, v48, v51
	v_dual_fmac_f32 v48, -0.5, v25 :: v_dual_sub_f32 v25, v49, v39
	v_add_f32_e32 v49, v47, v49
	s_delay_alu instid0(VALU_DEP_4) | instskip(SKIP_1) | instid1(VALU_DEP_4)
	v_fmac_f32_e32 v47, -0.5, v55
	v_dual_sub_f32 v51, v51, v32 :: v_dual_fmac_f32 v0, 0xbf5db3d7, v3
	v_fmamk_f32 v3, v25, 0x3f5db3d7, v48
	s_delay_alu instid0(VALU_DEP_4) | instskip(NEXT) | instid1(VALU_DEP_3)
	v_dual_fmac_f32 v48, 0xbf5db3d7, v25 :: v_dual_add_f32 v25, v49, v39
	v_fmamk_f32 v39, v51, 0xbf5db3d7, v47
	v_dual_fmac_f32 v47, 0x3f5db3d7, v51 :: v_dual_add_f32 v32, v78, v32
	s_delay_alu instid0(VALU_DEP_4) | instskip(NEXT) | instid1(VALU_DEP_4)
	v_mul_f32_e32 v49, 0xbf5db3d7, v3
	v_mul_f32_e32 v51, 0xbf5db3d7, v48
	v_dual_mul_f32 v48, -0.5, v48 :: v_dual_mul_f32 v3, 0.5, v3
	s_delay_alu instid0(VALU_DEP_4) | instskip(SKIP_1) | instid1(VALU_DEP_3)
	v_dual_add_f32 v124, v52, v32 :: v_dual_add_f32 v55, v58, v25
	v_sub_f32_e32 v32, v52, v32
	v_fmac_f32_e32 v48, 0x3f5db3d7, v47
	v_fmac_f32_e32 v49, 0.5, v39
	v_fmac_f32_e32 v3, 0x3f5db3d7, v39
	v_sub_f32_e32 v25, v58, v25
	v_add_f32_e32 v52, v41, v37
	s_delay_alu instid0(VALU_DEP_4)
	v_dual_add_f32 v126, v0, v48 :: v_dual_add_f32 v39, v50, v49
	v_dual_sub_f32 v48, v0, v48 :: v_dual_sub_f32 v49, v50, v49
	v_add_f32_e32 v50, v43, v44
	v_dual_add_f32 v0, v46, v38 :: v_dual_fmac_f32 v51, -0.5, v47
	v_add_f32_e32 v125, v54, v3
	v_dual_mul_f32 v99, 0.5, v99 :: v_dual_mul_f32 v102, 0.5, v102
	s_delay_alu instid0(VALU_DEP_3)
	v_dual_fmac_f32 v112, 0.5, v101 :: v_dual_add_f32 v47, v2, v51
	v_sub_f32_e32 v2, v2, v51
	v_sub_f32_e32 v51, v54, v3
	v_dual_add_f32 v3, v26, v43 :: v_dual_fmac_f32 v26, -0.5, v50
	v_sub_f32_e32 v50, v46, v38
	v_dual_add_f32 v46, v1, v46 :: v_dual_fmac_f32 v1, -0.5, v0
	s_delay_alu instid0(VALU_DEP_3) | instskip(NEXT) | instid1(VALU_DEP_3)
	v_add_f32_e32 v3, v3, v44
	v_dual_sub_f32 v0, v43, v44 :: v_dual_fmamk_f32 v43, v50, 0xbf5db3d7, v26
	v_add_f32_e32 v44, v37, v31
	v_fmac_f32_e32 v26, 0x3f5db3d7, v50
	v_add_f32_e32 v38, v46, v38
	v_dual_add_f32 v50, v42, v34 :: v_dual_sub_f32 v37, v37, v31
	s_delay_alu instid0(VALU_DEP_4) | instskip(SKIP_3) | instid1(VALU_DEP_4)
	v_dual_fmac_f32 v41, -0.5, v44 :: v_dual_sub_f32 v44, v42, v34
	v_fmamk_f32 v46, v0, 0x3f5db3d7, v1
	v_dual_fmac_f32 v1, 0xbf5db3d7, v0 :: v_dual_add_f32 v42, v45, v42
	v_fmac_f32_e32 v99, 0x3f5db3d7, v98
	v_fmamk_f32 v0, v44, 0x3f5db3d7, v41
	v_fmac_f32_e32 v41, 0xbf5db3d7, v44
	v_dual_fmac_f32 v45, -0.5, v50 :: v_dual_fmac_f32 v102, 0x3f5db3d7, v101
	v_add_f32_e32 v57, v96, v91
	s_delay_alu instid0(VALU_DEP_3) | instskip(SKIP_1) | instid1(VALU_DEP_4)
	v_dual_sub_f32 v27, v27, v111 :: v_dual_mul_f32 v44, 0xbf5db3d7, v41
	v_dual_add_f32 v34, v42, v34 :: v_dual_mul_f32 v41, -0.5, v41
	v_fmamk_f32 v42, v37, 0xbf5db3d7, v45
	v_fmac_f32_e32 v45, 0x3f5db3d7, v37
	v_mul_f32_e32 v37, 0xbf5db3d7, v0
	v_dual_add_f32 v31, v52, v31 :: v_dual_mul_f32 v0, 0.5, v0
	s_delay_alu instid0(VALU_DEP_3) | instskip(NEXT) | instid1(VALU_DEP_3)
	v_dual_add_f32 v50, v3, v34 :: v_dual_fmac_f32 v41, 0x3f5db3d7, v45
	v_dual_fmac_f32 v37, 0.5, v42 :: v_dual_fmac_f32 v44, -0.5, v45
	s_delay_alu instid0(VALU_DEP_3) | instskip(SKIP_2) | instid1(VALU_DEP_4)
	v_fmac_f32_e32 v0, 0x3f5db3d7, v42
	v_and_b32_e32 v17, 0xffff, v17
	v_sub_f32_e32 v3, v3, v34
	v_dual_add_f32 v42, v43, v37 :: v_dual_add_f32 v45, v26, v44
	s_delay_alu instid0(VALU_DEP_4)
	v_add_f32_e32 v54, v46, v0
	v_dual_sub_f32 v34, v43, v37 :: v_dual_sub_f32 v37, v46, v0
	v_sub_f32_e32 v26, v26, v44
	v_mul_u32_u24_e32 v0, 0xf0, v17
	v_dual_sub_f32 v18, v1, v41 :: v_dual_lshlrev_b32 v17, 2, v18
	v_dual_add_f32 v52, v38, v31 :: v_dual_add_f32 v127, v1, v41
	v_lshlrev_b32_e32 v1, 2, v19
	s_delay_alu instid0(VALU_DEP_3) | instskip(SKIP_4) | instid1(VALU_DEP_4)
	v_add3_u32 v17, 0, v0, v17
	v_mul_u32_u24_e32 v0, 0xf0, v16
	v_and_b32_e32 v16, 0xffff, v22
	v_dual_add_f32 v116, v4, v59 :: v_dual_add_f32 v5, v85, v114
	v_sub_f32_e32 v117, v4, v59
	v_add3_u32 v19, 0, v0, v1
	s_delay_alu instid0(VALU_DEP_4) | instskip(SKIP_4) | instid1(VALU_DEP_4)
	v_mul_u32_u24_e32 v0, 0xf0, v16
	v_lshlrev_b32_e32 v1, 2, v24
	v_and_b32_e32 v16, 0xffff, v20
	v_add_f32_e32 v4, v100, v112
	v_dual_add_f32 v59, v28, v113 :: v_dual_add_f32 v110, v83, v99
	v_add3_u32 v22, 0, v0, v1
	v_dual_sub_f32 v111, v83, v99 :: v_dual_add_f32 v118, v89, v102
	v_sub_f32_e32 v83, v100, v112
	v_sub_f32_e32 v28, v28, v113
	;; [unrolled: 1-line block ×3, first 2 shown]
	v_add_f32_e32 v89, v29, v79
	v_mul_u32_u24_e32 v0, 0xf0, v16
	v_lshlrev_b32_e32 v1, 2, v21
	global_wb scope:SCOPE_SE
	s_barrier_signal -1
	s_barrier_wait -1
	global_inv scope:SCOPE_SE
	ds_store_2addr_b32 v17, v87, v82 offset1:10
	ds_store_2addr_b32 v17, v93, v35 offset0:20 offset1:30
	ds_store_2addr_b32 v17, v92, v27 offset0:40 offset1:50
	ds_store_2addr_b32 v19, v105, v4 offset1:10
	ds_store_2addr_b32 v19, v59, v84 offset0:20 offset1:30
	ds_store_2addr_b32 v19, v83, v28 offset0:40 offset1:50
	ds_store_2addr_b32 v22, v108, v5 offset1:10
	ds_store_2addr_b32 v22, v89, v90 offset0:20 offset1:30
	v_mul_u32_u24_e32 v4, 0xf0, v74
	v_lshlrev_b32_e32 v5, 2, v76
	v_add3_u32 v16, 0, v0, v1
	v_mul_u32_u24_e32 v0, 0xf0, v73
	v_lshlrev_b32_e32 v1, 2, v75
	v_dual_sub_f32 v85, v85, v114 :: v_dual_sub_f32 v114, v86, v88
	v_sub_f32_e32 v29, v29, v79
	v_add3_u32 v24, 0, v4, v5
	s_delay_alu instid0(VALU_DEP_4)
	v_add3_u32 v27, 0, v0, v1
	v_dual_add_f32 v113, v86, v88 :: v_dual_sub_f32 v104, v104, v81
	v_sub_f32_e32 v31, v38, v31
	ds_store_2addr_b32 v22, v85, v29 offset0:40 offset1:50
	ds_store_2addr_b32 v16, v97, v53 offset1:10
	ds_store_2addr_b32 v16, v56, v80 offset0:20 offset1:30
	ds_store_2addr_b32 v16, v77, v30 offset0:40 offset1:50
	ds_store_2addr_b32 v24, v55, v39 offset1:10
	ds_store_2addr_b32 v24, v47, v25 offset0:20 offset1:30
	;; [unrolled: 3-line block ×3, first 2 shown]
	ds_store_2addr_b32 v27, v34, v26 offset0:40 offset1:50
	global_wb scope:SCOPE_SE
	s_wait_dscnt 0x0
	s_barrier_signal -1
	s_barrier_wait -1
	global_inv scope:SCOPE_SE
	ds_load_2addr_b32 v[4:5], v63 offset1:60
	ds_load_2addr_b32 v[20:21], v11 offset0:104 offset1:164
	ds_load_2addr_b32 v[58:59], v23 offset0:80 offset1:140
	;; [unrolled: 1-line block ×17, first 2 shown]
	global_wb scope:SCOPE_SE
	s_wait_dscnt 0x0
	s_barrier_signal -1
	s_barrier_wait -1
	global_inv scope:SCOPE_SE
	ds_store_2addr_b32 v17, v36, v110 offset1:10
	ds_store_2addr_b32 v17, v116, v40 offset0:20 offset1:30
	ds_store_2addr_b32 v17, v111, v117 offset0:40 offset1:50
	ds_store_2addr_b32 v19, v106, v118 offset1:10
	ds_store_2addr_b32 v19, v119, v107 offset0:20 offset1:30
	ds_store_2addr_b32 v19, v112, v60 offset0:40 offset1:50
	ds_store_2addr_b32 v22, v109, v113 offset1:10
	ds_store_2addr_b32 v22, v120, v33 offset0:20 offset1:30
	ds_store_2addr_b32 v22, v114, v121 offset0:40 offset1:50
	ds_store_2addr_b32 v16, v103, v57 offset1:10
	ds_store_2addr_b32 v16, v115, v104 offset0:20 offset1:30
	ds_store_2addr_b32 v16, v122, v123 offset0:40 offset1:50
	ds_store_2addr_b32 v24, v124, v125 offset1:10
	ds_store_2addr_b32 v24, v126, v32 offset0:20 offset1:30
	v_mul_u32_u24_e32 v16, 5, v10
	ds_store_2addr_b32 v24, v51, v48 offset0:40 offset1:50
	ds_store_2addr_b32 v27, v52, v54 offset1:10
	ds_store_2addr_b32 v27, v127, v31 offset0:20 offset1:30
	ds_store_2addr_b32 v27, v37, v18 offset0:40 offset1:50
	global_wb scope:SCOPE_SE
	s_wait_dscnt 0x0
	s_barrier_signal -1
	s_barrier_wait -1
	v_lshlrev_b32_e32 v49, 3, v16
	global_inv scope:SCOPE_SE
	global_load_b128 v[24:27], v49, s[4:5] offset:416
	v_and_b32_e32 v12, 0xff, v6
	global_load_b128 v[16:19], v49, s[4:5] offset:400
	v_and_b32_e32 v15, 0xff, v7
	v_mul_u32_u24_e32 v6, 5, v12
	s_delay_alu instid0(VALU_DEP_2) | instskip(NEXT) | instid1(VALU_DEP_2)
	v_mul_u32_u24_e32 v7, 5, v15
	v_lshlrev_b32_e32 v44, 3, v6
	v_mul_u32_u24_e32 v6, 0x8889, v14
	s_delay_alu instid0(VALU_DEP_3) | instskip(NEXT) | instid1(VALU_DEP_2)
	v_lshlrev_b32_e32 v22, 3, v7
	v_lshrrev_b32_e32 v6, 21, v6
	s_clause 0x3
	global_load_b128 v[28:31], v22, s[4:5] offset:400
	global_load_b128 v[32:35], v44, s[4:5] offset:400
	;; [unrolled: 1-line block ×4, first 2 shown]
	v_and_b32_e32 v13, 0xffff, v13
	v_mul_lo_u16 v14, v6, 60
	s_clause 0x2
	global_load_b64 v[6:7], v49, s[4:5] offset:432
	global_load_b64 v[103:104], v22, s[4:5] offset:432
	;; [unrolled: 1-line block ×3, first 2 shown]
	v_mul_u32_u24_e32 v48, 5, v13
	v_sub_nc_u16 v14, v62, v14
	s_delay_alu instid0(VALU_DEP_1) | instskip(NEXT) | instid1(VALU_DEP_1)
	v_and_b32_e32 v14, 0xffff, v14
	v_mul_u32_u24_e32 v22, 5, v14
	s_delay_alu instid0(VALU_DEP_1)
	v_lshlrev_b32_e32 v22, 3, v22
	s_clause 0x2
	global_load_b128 v[44:47], v22, s[4:5] offset:400
	global_load_b128 v[50:53], v22, s[4:5] offset:416
	global_load_b64 v[107:108], v22, s[4:5] offset:432
	v_lshlrev_b32_e32 v22, 3, v48
	s_clause 0x2
	global_load_b128 v[54:57], v22, s[4:5] offset:400
	global_load_b128 v[73:76], v22, s[4:5] offset:416
	global_load_b64 v[109:110], v22, s[4:5] offset:432
	ds_load_2addr_b32 v[111:112], v11 offset0:104 offset1:164
	ds_load_2addr_b32 v[113:114], v23 offset0:80 offset1:140
	;; [unrolled: 1-line block ×14, first 2 shown]
	s_wait_loadcnt_dscnt 0xd0d
	v_mul_f32_e32 v48, v111, v17
	v_mul_f32_e32 v60, v112, v17
	;; [unrolled: 1-line block ×4, first 2 shown]
	s_wait_dscnt 0xc
	v_dual_mul_f32 v139, v113, v19 :: v_dual_fmac_f32 v48, v20, v16
	v_dual_fmac_f32 v60, v21, v16 :: v_dual_mul_f32 v21, v58, v19
	v_mul_f32_e32 v140, v114, v19
	v_fma_f32 v111, v111, v16, -v22
	v_fma_f32 v112, v112, v16, -v17
	v_dual_mul_f32 v16, v59, v19 :: v_dual_fmac_f32 v139, v58, v18
	s_delay_alu instid0(VALU_DEP_4)
	v_fmac_f32_e32 v140, v59, v18
	v_fma_f32 v58, v113, v18, -v21
	s_wait_dscnt 0xb
	v_mul_f32_e32 v59, v115, v25
	v_fma_f32 v18, v114, v18, -v16
	v_mul_f32_e32 v113, v116, v25
	v_mul_f32_e32 v16, v77, v25
	ds_load_2addr_b32 v[19:20], v72 offset0:120 offset1:180
	s_wait_dscnt 0xb
	v_dual_mul_f32 v114, v117, v27 :: v_dual_mul_f32 v17, v78, v25
	v_fmac_f32_e32 v59, v77, v24
	v_fmac_f32_e32 v113, v78, v24
	v_mul_f32_e32 v25, v79, v27
	v_mul_f32_e32 v77, v118, v27
	v_fma_f32 v78, v115, v24, -v16
	v_mul_f32_e32 v16, v80, v27
	v_fma_f32 v115, v116, v24, -v17
	s_wait_loadcnt 0xc
	v_mul_f32_e32 v17, v83, v29
	s_wait_dscnt 0xa
	v_mul_f32_e32 v27, v119, v29
	v_fmac_f32_e32 v114, v79, v26
	v_fmac_f32_e32 v77, v80, v26
	s_wait_loadcnt_dscnt 0xb09
	v_dual_mul_f32 v29, v121, v31 :: v_dual_mul_f32 v24, v84, v33
	v_fma_f32 v79, v117, v26, -v25
	v_fma_f32 v26, v118, v26, -v16
	v_dual_mul_f32 v16, v85, v31 :: v_dual_mul_f32 v31, v120, v33
	s_wait_loadcnt_dscnt 0x907
	v_mul_f32_e32 v80, v126, v43
	v_mul_f32_e32 v33, v122, v35
	;; [unrolled: 1-line block ×4, first 2 shown]
	v_fmac_f32_e32 v27, v83, v28
	v_fma_f32 v28, v119, v28, -v17
	v_fmac_f32_e32 v29, v85, v30
	v_fma_f32 v30, v121, v30, -v16
	v_dual_mul_f32 v16, v87, v37 :: v_dual_mul_f32 v37, v125, v39
	v_dual_mul_f32 v17, v89, v39 :: v_dual_fmac_f32 v80, v90, v42
	v_mul_f32_e32 v39, v124, v41
	v_fmac_f32_e32 v31, v84, v32
	v_mul_f32_e32 v41, v88, v41
	v_fma_f32 v32, v120, v32, -v24
	v_mul_f32_e32 v24, v90, v43
	v_fmac_f32_e32 v33, v86, v34
	s_wait_loadcnt_dscnt 0x300
	v_dual_mul_f32 v83, v128, v7 :: v_dual_mul_f32 v90, v19, v108
	v_mul_f32_e32 v84, v81, v7
	v_dual_mul_f32 v86, v130, v106 :: v_dual_mul_f32 v43, v127, v7
	v_dual_fmac_f32 v39, v88, v40 :: v_dual_mul_f32 v88, v137, v53
	v_mul_f32_e32 v7, v82, v7
	v_fma_f32 v40, v124, v40, -v41
	v_fma_f32 v41, v126, v42, -v24
	v_fmac_f32_e32 v83, v82, v6
	v_fma_f32 v42, v127, v6, -v84
	v_mul_f32_e32 v84, v131, v45
	v_dual_fmac_f32 v86, v92, v105 :: v_dual_fmac_f32 v43, v81, v6
	v_fmac_f32_e32 v88, v99, v52
	v_fma_f32 v81, v128, v6, -v7
	v_dual_mul_f32 v6, v93, v45 :: v_dual_fmac_f32 v35, v87, v36
	v_mul_f32_e32 v87, v133, v47
	v_dual_fmac_f32 v84, v93, v44 :: v_dual_mul_f32 v7, v95, v47
	s_delay_alu instid0(VALU_DEP_3)
	v_fma_f32 v44, v131, v44, -v6
	v_mul_f32_e32 v47, v135, v51
	v_mul_f32_e32 v6, v97, v51
	ds_load_2addr_b32 v[21:22], v63 offset1:60
	v_mul_f32_e32 v85, v129, v104
	v_fma_f32 v36, v123, v36, -v16
	s_wait_loadcnt 0x2
	v_dual_mul_f32 v16, v132, v55 :: v_dual_fmac_f32 v37, v89, v38
	v_fma_f32 v38, v125, v38, -v17
	v_fmac_f32_e32 v47, v97, v50
	v_fma_f32 v89, v135, v50, -v6
	v_mul_f32_e32 v17, v94, v55
	v_mul_f32_e32 v55, v134, v57
	v_dual_mul_f32 v50, v96, v57 :: v_dual_fmac_f32 v85, v91, v103
	s_wait_loadcnt 0x1
	v_mul_f32_e32 v57, v136, v74
	v_mul_f32_e32 v51, v98, v74
	v_fmac_f32_e32 v55, v96, v56
	v_fma_f32 v56, v134, v56, -v50
	v_mul_f32_e32 v74, v138, v76
	v_mul_f32_e32 v50, v100, v76
	s_wait_loadcnt 0x0
	v_mul_f32_e32 v76, v20, v110
	v_fmac_f32_e32 v87, v95, v46
	v_fma_f32 v34, v122, v34, -v25
	v_fmac_f32_e32 v74, v100, v75
	v_fma_f32 v75, v138, v75, -v50
	v_add_f32_e32 v50, v139, v114
	v_fmac_f32_e32 v76, v102, v109
	v_fma_f32 v46, v133, v46, -v7
	v_mul_f32_e32 v7, v99, v53
	v_dual_mul_f32 v25, v91, v104 :: v_dual_fmac_f32 v90, v101, v107
	v_fma_f32 v53, -0.5, v50, v4
	v_fmac_f32_e32 v16, v94, v54
	s_delay_alu instid0(VALU_DEP_4)
	v_fma_f32 v91, v137, v52, -v7
	v_add_f32_e32 v52, v4, v139
	v_sub_f32_e32 v4, v58, v79
	v_fmac_f32_e32 v57, v98, v73
	v_fma_f32 v73, v136, v73, -v51
	v_mul_f32_e32 v51, v102, v110
	s_wait_dscnt 0x0
	v_add_f32_e32 v50, v21, v58
	v_fma_f32 v17, v132, v54, -v17
	v_fmamk_f32 v54, v4, 0xbf5db3d7, v53
	v_dual_fmac_f32 v53, 0x3f5db3d7, v4 :: v_dual_add_f32 v4, v78, v42
	v_mul_f32_e32 v104, v92, v106
	v_add_f32_e32 v92, v111, v78
	v_add_f32_e32 v52, v52, v114
	v_mul_f32_e32 v6, v101, v108
	v_dual_fmac_f32 v111, -0.5, v4 :: v_dual_sub_f32 v4, v59, v43
	v_fma_f32 v20, v20, v109, -v51
	v_add_f32_e32 v51, v58, v79
	v_add_f32_e32 v58, v50, v79
	;; [unrolled: 1-line block ×4, first 2 shown]
	v_fma_f32 v82, v129, v103, -v25
	ds_load_2addr_b32 v[24:25], v63 offset0:120 offset1:180
	v_fma_f32 v45, v130, v105, -v104
	v_fmac_f32_e32 v48, -0.5, v50
	v_fma_f32 v21, -0.5, v51, v21
	v_sub_f32_e32 v50, v78, v42
	v_sub_f32_e32 v51, v139, v114
	v_add_f32_e32 v42, v92, v42
	v_fma_f32 v19, v19, v107, -v6
	ds_load_2addr_b32 v[6:7], v68 offset0:112 offset1:172
	v_lshl_add_u32 v15, v15, 2, 0
	v_fmamk_f32 v79, v51, 0x3f5db3d7, v21
	v_fmac_f32_e32 v21, 0xbf5db3d7, v51
	v_fmamk_f32 v51, v4, 0x3f5db3d7, v111
	v_dual_fmac_f32 v111, 0xbf5db3d7, v4 :: v_dual_fmamk_f32 v4, v50, 0xbf5db3d7, v48
	v_fmac_f32_e32 v48, 0x3f5db3d7, v50
	global_wb scope:SCOPE_SE
	s_wait_dscnt 0x0
	v_mul_f32_e32 v92, 0.5, v51
	v_mul_f32_e32 v78, 0xbf5db3d7, v111
	v_mul_f32_e32 v93, -0.5, v111
	s_barrier_signal -1
	s_barrier_wait -1
	v_fmac_f32_e32 v92, 0x3f5db3d7, v4
	v_dual_fmac_f32 v78, -0.5, v48 :: v_dual_add_f32 v43, v59, v43
	v_mul_f32_e32 v59, 0xbf5db3d7, v51
	global_inv scope:SCOPE_SE
	v_dual_add_f32 v50, v79, v92 :: v_dual_add_f32 v95, v53, v78
	v_dual_sub_f32 v78, v53, v78 :: v_dual_fmac_f32 v59, 0.5, v4
	v_add_f32_e32 v94, v52, v43
	v_dual_add_f32 v4, v58, v42 :: v_dual_sub_f32 v43, v52, v43
	v_sub_f32_e32 v52, v58, v42
	v_add_f32_e32 v58, v5, v140
	v_dual_fmac_f32 v93, 0x3f5db3d7, v48 :: v_dual_add_f32 v42, v140, v77
	v_add_f32_e32 v48, v54, v59
	v_sub_f32_e32 v59, v54, v59
	v_sub_f32_e32 v53, v79, v92
	s_delay_alu instid0(VALU_DEP_4) | instskip(SKIP_4) | instid1(VALU_DEP_4)
	v_add_f32_e32 v51, v21, v93
	v_dual_sub_f32 v54, v21, v93 :: v_dual_add_f32 v21, v18, v26
	v_dual_fmac_f32 v5, -0.5, v42 :: v_dual_add_f32 v58, v58, v77
	v_sub_f32_e32 v42, v18, v26
	v_add_f32_e32 v18, v22, v18
	v_fmac_f32_e32 v22, -0.5, v21
	v_sub_f32_e32 v21, v140, v77
	v_add_f32_e32 v79, v113, v83
	v_fmamk_f32 v77, v42, 0xbf5db3d7, v5
	v_dual_fmac_f32 v5, 0x3f5db3d7, v42 :: v_dual_add_f32 v42, v115, v81
	v_add_f32_e32 v18, v18, v26
	v_add_f32_e32 v92, v112, v115
	v_dual_add_f32 v93, v60, v113 :: v_dual_fmac_f32 v60, -0.5, v79
	s_delay_alu instid0(VALU_DEP_4)
	v_dual_fmac_f32 v112, -0.5, v42 :: v_dual_sub_f32 v79, v115, v81
	v_sub_f32_e32 v42, v113, v83
	v_fmamk_f32 v26, v21, 0x3f5db3d7, v22
	v_fmac_f32_e32 v22, 0xbf5db3d7, v21
	v_add_f32_e32 v81, v92, v81
	ds_store_2addr_b32 v63, v94, v48 offset1:60
	v_fmamk_f32 v21, v42, 0x3f5db3d7, v112
	v_fmac_f32_e32 v112, 0xbf5db3d7, v42
	v_dual_add_f32 v42, v93, v83 :: v_dual_fmamk_f32 v83, v79, 0xbf5db3d7, v60
	v_fmac_f32_e32 v60, 0x3f5db3d7, v79
	s_delay_alu instid0(VALU_DEP_4) | instskip(SKIP_3) | instid1(VALU_DEP_4)
	v_mul_f32_e32 v79, 0xbf5db3d7, v21
	v_mul_f32_e32 v21, 0.5, v21
	v_mul_f32_e32 v93, 0xbf5db3d7, v112
	v_mul_f32_e32 v92, -0.5, v112
	v_dual_add_f32 v96, v58, v42 :: v_dual_fmac_f32 v79, 0.5, v83
	s_delay_alu instid0(VALU_DEP_4) | instskip(NEXT) | instid1(VALU_DEP_4)
	v_fmac_f32_e32 v21, 0x3f5db3d7, v83
	v_fmac_f32_e32 v93, -0.5, v60
	s_delay_alu instid0(VALU_DEP_4) | instskip(NEXT) | instid1(VALU_DEP_4)
	v_dual_fmac_f32 v92, 0x3f5db3d7, v60 :: v_dual_add_f32 v97, v18, v81
	v_add_f32_e32 v60, v77, v79
	s_delay_alu instid0(VALU_DEP_3) | instskip(NEXT) | instid1(VALU_DEP_3)
	v_dual_sub_f32 v42, v58, v42 :: v_dual_add_f32 v83, v5, v93
	v_dual_add_f32 v99, v22, v92 :: v_dual_sub_f32 v58, v77, v79
	v_sub_f32_e32 v77, v18, v81
	v_dual_add_f32 v18, v29, v37 :: v_dual_sub_f32 v81, v22, v92
	v_add_f32_e32 v98, v26, v21
	v_dual_sub_f32 v5, v5, v93 :: v_dual_add_f32 v22, v30, v38
	v_sub_f32_e32 v79, v26, v21
	v_add_f32_e32 v21, v2, v29
	v_fma_f32 v2, -0.5, v18, v2
	v_sub_f32_e32 v18, v30, v38
	v_add_f32_e32 v26, v24, v30
	v_fma_f32 v22, -0.5, v22, v24
	v_sub_f32_e32 v24, v29, v37
	ds_store_2addr_b32 v63, v95, v43 offset0:120 offset1:180
	ds_store_2addr_b32 v68, v59, v78 offset0:112 offset1:172
	;; [unrolled: 1-line block ×3, first 2 shown]
	v_fmamk_f32 v29, v18, 0xbf5db3d7, v2
	v_fmac_f32_e32 v2, 0x3f5db3d7, v18
	v_dual_add_f32 v18, v36, v82 :: v_dual_add_f32 v21, v21, v37
	v_dual_add_f32 v26, v26, v38 :: v_dual_add_f32 v37, v35, v85
	v_add_f32_e32 v38, v28, v36
	v_sub_f32_e32 v36, v36, v82
	s_delay_alu instid0(VALU_DEP_4) | instskip(SKIP_3) | instid1(VALU_DEP_3)
	v_fmac_f32_e32 v28, -0.5, v18
	v_sub_f32_e32 v18, v35, v85
	v_dual_fmamk_f32 v30, v24, 0x3f5db3d7, v22 :: v_dual_add_f32 v35, v27, v35
	v_dual_fmac_f32 v27, -0.5, v37 :: v_dual_fmac_f32 v22, 0xbf5db3d7, v24
	v_fmamk_f32 v24, v18, 0x3f5db3d7, v28
	v_fmac_f32_e32 v28, 0xbf5db3d7, v18
	s_delay_alu instid0(VALU_DEP_4) | instskip(SKIP_2) | instid1(VALU_DEP_4)
	v_dual_add_f32 v18, v35, v85 :: v_dual_add_nc_u32 v59, 0xa00, v15
	v_lshl_add_u32 v12, v12, 2, 0
	v_add_nc_u32_e32 v60, 0xc00, v15
	v_mul_f32_e32 v37, 0xbf5db3d7, v28
	v_fmamk_f32 v35, v36, 0xbf5db3d7, v27
	v_fmac_f32_e32 v27, 0x3f5db3d7, v36
	ds_store_2addr_b32 v64, v83, v42 offset0:96 offset1:156
	ds_store_2addr_b32 v69, v58, v5 offset0:88 offset1:148
	v_add_nc_u32_e32 v5, 0x1000, v12
	v_lshl_add_u32 v14, v14, 2, 0
	v_dual_fmac_f32 v37, -0.5, v27 :: v_dual_add_f32 v38, v38, v82
	s_delay_alu instid0(VALU_DEP_2) | instskip(NEXT) | instid1(VALU_DEP_2)
	v_add_nc_u32_e32 v58, 0x1400, v14
	v_add_f32_e32 v85, v26, v38
	v_sub_f32_e32 v100, v26, v38
	v_add_f32_e32 v26, v33, v80
	v_mul_f32_e32 v36, 0xbf5db3d7, v24
	v_add_f32_e32 v82, v21, v18
	v_sub_f32_e32 v18, v21, v18
	s_delay_alu instid0(VALU_DEP_3) | instskip(NEXT) | instid1(VALU_DEP_1)
	v_fmac_f32_e32 v36, 0.5, v35
	v_sub_f32_e32 v21, v29, v36
	v_mul_f32_e32 v28, -0.5, v28
	s_delay_alu instid0(VALU_DEP_1) | instskip(SKIP_2) | instid1(VALU_DEP_2)
	v_dual_fmac_f32 v28, 0x3f5db3d7, v27 :: v_dual_add_f32 v27, v29, v36
	v_mul_f32_e32 v24, 0.5, v24
	v_add_f32_e32 v36, v31, v39
	v_dual_fmac_f32 v24, 0x3f5db3d7, v35 :: v_dual_add_f32 v35, v2, v37
	s_delay_alu instid0(VALU_DEP_4) | instskip(SKIP_2) | instid1(VALU_DEP_4)
	v_add_f32_e32 v93, v22, v28
	v_sub_f32_e32 v102, v22, v28
	v_add_f32_e32 v22, v34, v41
	v_add_f32_e32 v92, v30, v24
	v_dual_sub_f32 v101, v30, v24 :: v_dual_add_f32 v24, v3, v33
	v_dual_fmac_f32 v3, -0.5, v26 :: v_dual_sub_f32 v26, v34, v41
	s_delay_alu instid0(VALU_DEP_1)
	v_fmamk_f32 v29, v26, 0xbf5db3d7, v3
	v_fmac_f32_e32 v3, 0x3f5db3d7, v26
	v_add_f32_e32 v28, v25, v34
	v_dual_fmac_f32 v25, -0.5, v22 :: v_dual_sub_f32 v22, v33, v80
	v_dual_add_f32 v33, v39, v86 :: v_dual_add_f32 v34, v32, v40
	v_sub_f32_e32 v2, v2, v37
	s_delay_alu instid0(VALU_DEP_3) | instskip(SKIP_1) | instid1(VALU_DEP_4)
	v_fmamk_f32 v30, v22, 0x3f5db3d7, v25
	v_add_f32_e32 v26, v40, v45
	v_fmac_f32_e32 v31, -0.5, v33
	v_sub_f32_e32 v33, v40, v45
	v_fmac_f32_e32 v25, 0xbf5db3d7, v22
	s_delay_alu instid0(VALU_DEP_4) | instskip(SKIP_1) | instid1(VALU_DEP_1)
	v_fmac_f32_e32 v32, -0.5, v26
	v_sub_f32_e32 v26, v39, v86
	v_fmamk_f32 v22, v26, 0x3f5db3d7, v32
	v_fmac_f32_e32 v32, 0xbf5db3d7, v26
	v_add_f32_e32 v26, v36, v86
	v_fmamk_f32 v36, v33, 0xbf5db3d7, v31
	v_fmac_f32_e32 v31, 0x3f5db3d7, v33
	v_mul_f32_e32 v33, 0xbf5db3d7, v22
	v_mul_f32_e32 v37, 0xbf5db3d7, v32
	v_mul_f32_e32 v32, -0.5, v32
	v_mul_f32_e32 v22, 0.5, v22
	ds_store_2addr_b32 v59, v82, v27 offset0:80 offset1:140
	ds_store_2addr_b32 v60, v35, v18 offset0:72 offset1:132
	v_fmac_f32_e32 v33, 0.5, v36
	v_dual_add_f32 v24, v24, v80 :: v_dual_fmac_f32 v37, -0.5, v31
	v_fmac_f32_e32 v32, 0x3f5db3d7, v31
	s_delay_alu instid0(VALU_DEP_3) | instskip(NEXT) | instid1(VALU_DEP_3)
	v_dual_fmac_f32 v22, 0x3f5db3d7, v36 :: v_dual_add_f32 v31, v29, v33
	v_add_f32_e32 v38, v24, v26
	s_delay_alu instid0(VALU_DEP_3)
	v_dual_add_f32 v36, v3, v37 :: v_dual_add_f32 v103, v25, v32
	v_sub_f32_e32 v24, v24, v26
	v_sub_f32_e32 v26, v29, v33
	;; [unrolled: 1-line block ×3, first 2 shown]
	v_dual_add_f32 v28, v28, v41 :: v_dual_add_f32 v29, v6, v46
	v_dual_sub_f32 v106, v25, v32 :: v_dual_add_f32 v25, v46, v91
	v_dual_add_f32 v33, v47, v90 :: v_dual_add_f32 v34, v34, v45
	s_delay_alu instid0(VALU_DEP_3) | instskip(SKIP_1) | instid1(VALU_DEP_4)
	v_add_f32_e32 v29, v29, v91
	v_sub_f32_e32 v105, v30, v22
	v_fma_f32 v6, -0.5, v25, v6
	s_delay_alu instid0(VALU_DEP_4) | instskip(SKIP_3) | instid1(VALU_DEP_4)
	v_dual_sub_f32 v25, v87, v88 :: v_dual_add_f32 v80, v28, v34
	v_sub_f32_e32 v104, v28, v34
	v_add_f32_e32 v28, v87, v88
	v_add_f32_e32 v34, v44, v89
	v_fmamk_f32 v32, v25, 0x3f5db3d7, v6
	v_add_f32_e32 v86, v30, v22
	v_add_f32_e32 v22, v0, v87
	v_fma_f32 v0, -0.5, v28, v0
	v_sub_f32_e32 v28, v46, v91
	v_dual_add_f32 v37, v84, v47 :: v_dual_fmac_f32 v84, -0.5, v33
	v_dual_sub_f32 v33, v89, v19 :: v_dual_fmac_f32 v6, 0xbf5db3d7, v25
	s_delay_alu instid0(VALU_DEP_3) | instskip(SKIP_2) | instid1(VALU_DEP_1)
	v_fmamk_f32 v30, v28, 0xbf5db3d7, v0
	v_fmac_f32_e32 v0, 0x3f5db3d7, v28
	v_add_f32_e32 v28, v89, v19
	v_dual_add_f32 v19, v34, v19 :: v_dual_fmac_f32 v44, -0.5, v28
	s_delay_alu instid0(VALU_DEP_1) | instskip(NEXT) | instid1(VALU_DEP_1)
	v_dual_sub_f32 v28, v47, v90 :: v_dual_sub_f32 v89, v29, v19
	v_fmamk_f32 v25, v28, 0x3f5db3d7, v44
	v_fmac_f32_e32 v44, 0xbf5db3d7, v28
	v_add_f32_e32 v28, v37, v90
	v_fmamk_f32 v37, v33, 0xbf5db3d7, v84
	v_fmac_f32_e32 v84, 0x3f5db3d7, v33
	v_mul_f32_e32 v33, 0xbf5db3d7, v25
	v_mul_f32_e32 v25, 0.5, v25
	v_mul_f32_e32 v39, 0xbf5db3d7, v44
	v_mul_f32_e32 v34, -0.5, v44
	v_add_f32_e32 v44, v16, v57
	v_fmac_f32_e32 v33, 0.5, v37
	v_fmac_f32_e32 v25, 0x3f5db3d7, v37
	v_fmac_f32_e32 v39, -0.5, v84
	v_fmac_f32_e32 v34, 0x3f5db3d7, v84
	v_dual_add_f32 v84, v29, v19 :: v_dual_add_f32 v19, v55, v74
	s_delay_alu instid0(VALU_DEP_4) | instskip(SKIP_2) | instid1(VALU_DEP_4)
	v_add_f32_e32 v87, v32, v25
	v_dual_sub_f32 v90, v32, v25 :: v_dual_add_f32 v25, v1, v55
	v_add_f32_e32 v29, v56, v75
	v_fmac_f32_e32 v1, -0.5, v19
	v_sub_f32_e32 v19, v56, v75
	ds_store_2addr_b32 v60, v21, v2 offset0:192 offset1:252
	ds_store_2addr_b32 v5, v38, v31 offset0:56 offset1:116
	v_dual_add_f32 v25, v25, v74 :: v_dual_add_f32 v22, v22, v88
	v_add_nc_u32_e32 v2, 0x1400, v12
	v_fmamk_f32 v32, v19, 0xbf5db3d7, v1
	v_fmac_f32_e32 v1, 0x3f5db3d7, v19
	v_add_f32_e32 v19, v73, v20
	v_add_f32_e32 v40, v22, v28
	;; [unrolled: 1-line block ×3, first 2 shown]
	v_sub_f32_e32 v22, v22, v28
	v_sub_f32_e32 v28, v30, v33
	v_dual_add_f32 v30, v7, v56 :: v_dual_fmac_f32 v7, -0.5, v29
	v_sub_f32_e32 v29, v55, v74
	v_lshl_add_u32 v12, v13, 2, 0
	ds_store_2addr_b32 v2, v26, v3 offset0:40 offset1:100
	v_fmamk_f32 v33, v29, 0x3f5db3d7, v7
	v_add_f32_e32 v41, v0, v39
	v_dual_fmac_f32 v7, 0xbf5db3d7, v29 :: v_dual_add_f32 v30, v30, v75
	v_dual_sub_f32 v0, v0, v39 :: v_dual_add_f32 v39, v17, v73
	v_fmac_f32_e32 v17, -0.5, v19
	v_sub_f32_e32 v19, v57, v76
	v_add_nc_u32_e32 v75, 0x1800, v14
	v_add_nc_u32_e32 v3, 0x1c00, v12
	;; [unrolled: 1-line block ×3, first 2 shown]
	ds_store_2addr_b32 v5, v36, v24 offset0:176 offset1:236
	v_fmamk_f32 v29, v19, 0x3f5db3d7, v17
	v_fmac_f32_e32 v17, 0xbf5db3d7, v19
	v_add_f32_e32 v19, v44, v76
	s_delay_alu instid0(VALU_DEP_2) | instskip(SKIP_3) | instid1(VALU_DEP_1)
	v_mul_f32_e32 v45, 0xbf5db3d7, v17
	v_dual_mul_f32 v17, -0.5, v17 :: v_dual_add_f32 v88, v6, v34
	v_sub_f32_e32 v6, v6, v34
	v_add_f32_e32 v34, v57, v76
	v_fmac_f32_e32 v16, -0.5, v34
	v_sub_f32_e32 v34, v73, v20
	v_dual_add_f32 v20, v39, v20 :: v_dual_add_f32 v39, v25, v19
	v_sub_f32_e32 v19, v25, v19
	ds_store_2addr_b32 v58, v40, v37 offset0:160 offset1:220
	v_fmamk_f32 v44, v34, 0xbf5db3d7, v16
	v_fmac_f32_e32 v16, 0x3f5db3d7, v34
	v_mul_f32_e32 v34, 0xbf5db3d7, v29
	v_mul_f32_e32 v29, 0.5, v29
	s_delay_alu instid0(VALU_DEP_3) | instskip(NEXT) | instid1(VALU_DEP_3)
	v_fmac_f32_e32 v45, -0.5, v16
	v_fmac_f32_e32 v34, 0.5, v44
	s_delay_alu instid0(VALU_DEP_3) | instskip(NEXT) | instid1(VALU_DEP_3)
	v_fmac_f32_e32 v29, 0x3f5db3d7, v44
	v_dual_fmac_f32 v17, 0x3f5db3d7, v16 :: v_dual_add_f32 v44, v1, v45
	s_delay_alu instid0(VALU_DEP_3)
	v_add_f32_e32 v16, v32, v34
	v_sub_f32_e32 v25, v32, v34
	v_sub_f32_e32 v1, v1, v45
	v_add_f32_e32 v56, v33, v29
	v_add_f32_e32 v57, v7, v17
	v_sub_f32_e32 v74, v33, v29
	v_sub_f32_e32 v7, v7, v17
	v_add_f32_e32 v55, v30, v20
	v_sub_f32_e32 v73, v30, v20
	ds_store_2addr_b32 v75, v41, v22 offset0:24 offset1:84
	ds_store_2addr_b32 v75, v28, v0 offset0:144 offset1:204
	;; [unrolled: 1-line block ×5, first 2 shown]
	global_wb scope:SCOPE_SE
	s_wait_dscnt 0x0
	s_barrier_signal -1
	s_barrier_wait -1
	global_inv scope:SCOPE_SE
	ds_load_2addr_b32 v[13:14], v63 offset1:60
	ds_load_2addr_b32 v[19:20], v11 offset0:104 offset1:164
	ds_load_2addr_b32 v[15:16], v23 offset0:80 offset1:140
	;; [unrolled: 1-line block ×17, first 2 shown]
	global_wb scope:SCOPE_SE
	s_wait_dscnt 0x0
	s_barrier_signal -1
	s_barrier_wait -1
	global_inv scope:SCOPE_SE
	ds_store_2addr_b32 v63, v4, v50 offset1:60
	ds_store_2addr_b32 v63, v51, v52 offset0:120 offset1:180
	ds_store_2addr_b32 v68, v53, v54 offset0:112 offset1:172
	;; [unrolled: 1-line block ×17, first 2 shown]
	global_wb scope:SCOPE_SE
	s_wait_dscnt 0x0
	s_barrier_signal -1
	s_barrier_wait -1
	global_inv scope:SCOPE_SE
	s_and_saveexec_b32 s0, vcc_lo
	s_cbranch_execz .LBB0_19
; %bb.18:
	v_mul_u32_u24_e32 v0, 5, v61
	v_mad_u32_u24 v11, v61, 5, 0xfffffed4
	v_mov_b32_e32 v12, 0
	v_add_co_u32 v104, s0, s4, v49
	s_delay_alu instid0(VALU_DEP_4)
	v_lshlrev_b32_e32 v52, 3, v0
	s_wait_alu 0xf1fe
	v_add_co_ci_u32_e64 v105, null, s5, 0, s0
	v_lshlrev_b64_e32 v[50:51], 3, v[11:12]
	v_mad_u32_u24 v11, v61, 5, 0xfffffda8
	s_clause 0x2
	global_load_b128 v[4:7], v52, s[4:5] offset:2816
	global_load_b128 v[0:3], v52, s[4:5] offset:2800
	global_load_b64 v[59:60], v52, s[4:5] offset:2832
	v_add_nc_u32_e32 v130, 0x1400, v63
	v_add_co_u32 v64, vcc_lo, s4, v50
	s_wait_alu 0xfffd
	v_add_co_ci_u32_e32 v65, vcc_lo, s5, v51, vcc_lo
	s_clause 0x2
	global_load_b128 v[51:54], v[64:65], off offset:2816
	global_load_b128 v[55:58], v[64:65], off offset:2800
	global_load_b64 v[96:97], v[64:65], off offset:2832
	v_lshlrev_b64_e32 v[64:65], 3, v[11:12]
	v_mad_u32_u24 v11, v61, 5, 0xfffffc7c
	v_add_nc_u32_e32 v132, 0x1c00, v63
	v_add_nc_u32_e32 v133, 0xa00, v63
	s_delay_alu instid0(VALU_DEP_3) | instskip(SKIP_4) | instid1(VALU_DEP_4)
	v_lshlrev_b64_e32 v[74:75], 3, v[11:12]
	v_add_co_u32 v72, vcc_lo, s4, v64
	v_mad_u32_u24 v11, v61, 5, 0xfffffb50
	s_wait_alu 0xfffd
	v_add_co_ci_u32_e32 v73, vcc_lo, s5, v65, vcc_lo
	v_add_co_u32 v76, vcc_lo, s4, v74
	s_delay_alu instid0(VALU_DEP_3)
	v_lshlrev_b64_e32 v[80:81], 3, v[11:12]
	s_clause 0x2
	global_load_b128 v[64:67], v[72:73], off offset:2816
	global_load_b128 v[68:71], v[72:73], off offset:2800
	global_load_b64 v[98:99], v[72:73], off offset:2832
	s_wait_alu 0xfffd
	v_add_co_ci_u32_e32 v77, vcc_lo, s5, v75, vcc_lo
	s_clause 0x2
	global_load_b128 v[72:75], v[76:77], off offset:2816
	global_load_b64 v[100:101], v[76:77], off offset:2832
	global_load_b128 v[76:79], v[76:77], off offset:2800
	v_add_co_u32 v88, vcc_lo, s4, v80
	s_wait_alu 0xfffd
	v_add_co_ci_u32_e32 v89, vcc_lo, s5, v81, vcc_lo
	s_clause 0x2
	global_load_b128 v[80:83], v[88:89], off offset:2800
	global_load_b128 v[84:87], v[88:89], off offset:2816
	global_load_b64 v[102:103], v[88:89], off offset:2832
	v_add_nc_u32_e32 v11, 0x1800, v63
	ds_load_2addr_b32 v[106:107], v63 offset0:120 offset1:180
	ds_load_2addr_b32 v[108:109], v11 offset0:144 offset1:204
	;; [unrolled: 1-line block ×3, first 2 shown]
	v_add_nc_u32_e32 v88, 0x800, v63
	v_add_nc_u32_e32 v89, 0x1e00, v63
	ds_load_2addr_b32 v[49:50], v63 offset1:60
	v_add_co_u32 v8, vcc_lo, s8, v8
	s_wait_alu 0xfffd
	v_add_co_ci_u32_e32 v9, vcc_lo, s9, v9, vcc_lo
	s_wait_loadcnt_dscnt 0xe02
	v_mul_f32_e32 v134, v109, v7
	s_wait_dscnt 0x1
	v_mul_f32_e32 v135, v5, v111
	v_add_nc_u32_e32 v122, 0xc00, v63
	v_add_nc_u32_e32 v131, 0x1000, v63
	v_dual_mul_f32 v5, v46, v5 :: v_dual_fmac_f32 v134, v48, v6
	s_delay_alu instid0(VALU_DEP_4)
	v_fmac_f32_e32 v135, v46, v4
	ds_load_2addr_b32 v[112:113], v122 offset0:192 offset1:252
	ds_load_2addr_b32 v[114:115], v88 offset0:88 offset1:148
	ds_load_2addr_b32 v[116:117], v11 offset0:24 offset1:84
	ds_load_2addr_b32 v[118:119], v131 offset0:176 offset1:236
	ds_load_2addr_b32 v[120:121], v89 offset0:120 offset1:180
	v_mul_f32_e32 v11, v48, v7
	s_wait_loadcnt 0xd
	v_mul_f32_e32 v7, v44, v3
	v_fma_f32 v48, v4, v111, -v5
	s_clause 0x1
	global_load_b128 v[88:91], v[104:105], off offset:2816
	global_load_b128 v[92:95], v[104:105], off offset:2800
	v_fma_f32 v11, v6, v109, -v11
	s_wait_dscnt 0x4
	v_mul_f32_e32 v3, v113, v3
	s_wait_dscnt 0x3
	v_mul_f32_e32 v111, v1, v115
	v_dual_mul_f32 v1, v42, v1 :: v_dual_add_nc_u32 v124, 0x600, v63
	s_delay_alu instid0(VALU_DEP_3) | instskip(NEXT) | instid1(VALU_DEP_3)
	v_dual_fmac_f32 v3, v44, v2 :: v_dual_add_nc_u32 v126, 0x200, v63
	v_fmac_f32_e32 v111, v42, v0
	s_delay_alu instid0(VALU_DEP_3)
	v_fma_f32 v0, v0, v115, -v1
	s_wait_loadcnt 0xe
	v_mul_f32_e32 v1, v40, v60
	ds_load_2addr_b32 v[122:123], v122 offset0:72 offset1:132
	ds_load_2addr_b32 v[124:125], v124 offset0:96 offset1:156
	;; [unrolled: 1-line block ×4, first 2 shown]
	global_load_b64 v[104:105], v[104:105], off offset:2832
	s_wait_dscnt 0x4
	v_dual_mul_f32 v136, v60, v121 :: v_dual_add_nc_u32 v63, 0x400, v63
	v_fma_f32 v1, v59, v121, -v1
	s_wait_loadcnt 0xe
	v_mul_f32_e32 v44, v45, v52
	s_delay_alu instid0(VALU_DEP_3) | instskip(SKIP_1) | instid1(VALU_DEP_3)
	v_fmac_f32_e32 v136, v40, v59
	v_mul_f32_e32 v40, v108, v54
	v_fma_f32 v44, v51, v110, -v44
	s_delay_alu instid0(VALU_DEP_2)
	v_fmac_f32_e32 v40, v47, v53
	v_fma_f32 v113, v2, v113, -v7
	v_mul_f32_e32 v2, v47, v54
	ds_load_2addr_b32 v[4:5], v133 offset0:80 offset1:140
	ds_load_2addr_b32 v[6:7], v130 offset0:160 offset1:220
	;; [unrolled: 1-line block ×4, first 2 shown]
	s_wait_loadcnt 0xc
	v_mul_f32_e32 v54, v97, v120
	v_fma_f32 v42, v53, v108, -v2
	v_mul_f32_e32 v2, v52, v110
	ds_load_2addr_b32 v[108:109], v131 offset0:56 offset1:116
	v_dual_mul_f32 v52, v112, v58 :: v_dual_mul_f32 v53, v41, v56
	v_dual_sub_f32 v63, v3, v134 :: v_dual_fmac_f32 v2, v45, v51
	v_mul_f32_e32 v45, v43, v58
	v_dual_mul_f32 v51, v56, v114 :: v_dual_mul_f32 v56, v39, v97
	v_dual_add_f32 v58, v113, v11 :: v_dual_add_f32 v97, v135, v136
	s_delay_alu instid0(VALU_DEP_3) | instskip(SKIP_1) | instid1(VALU_DEP_3)
	v_fma_f32 v45, v57, v112, -v45
	s_wait_dscnt 0x6
	v_dual_add_f32 v110, v127, v113 :: v_dual_fmac_f32 v51, v41, v55
	v_fmac_f32_e32 v52, v43, v57
	v_sub_f32_e32 v43, v48, v1
	v_dual_add_f32 v57, v48, v1 :: v_dual_sub_f32 v112, v113, v11
	v_dual_add_f32 v48, v0, v48 :: v_dual_add_f32 v41, v3, v134
	v_add_f32_e32 v3, v34, v3
	v_add_f32_e32 v113, v111, v135
	v_sub_f32_e32 v115, v135, v136
	v_fma_f32 v53, v55, v114, -v53
	s_wait_loadcnt 0xb
	v_mul_f32_e32 v114, v65, v119
	v_dual_mul_f32 v55, v38, v67 :: v_dual_fmac_f32 v54, v39, v96
	v_mul_f32_e32 v67, v117, v67
	v_mul_f32_e32 v65, v36, v65
	v_fma_f32 v39, v96, v120, -v56
	s_wait_loadcnt 0xa
	v_mul_f32_e32 v56, v30, v71
	v_dual_mul_f32 v71, v123, v71 :: v_dual_add_f32 v48, v48, v1
	v_mul_f32_e32 v96, v69, v125
	v_mul_f32_e32 v69, v28, v69
	s_wait_loadcnt_dscnt 0x905
	v_dual_mul_f32 v120, v99, v129 :: v_dual_mul_f32 v99, v32, v99
	v_dual_add_f32 v11, v110, v11 :: v_dual_fmac_f32 v114, v36, v64
	v_fma_f32 v97, -0.5, v97, v111
	v_dual_add_f32 v110, v3, v134 :: v_dual_add_f32 v111, v113, v136
	s_delay_alu instid0(VALU_DEP_4)
	v_fmac_f32_e32 v120, v32, v98
	v_fma_f32 v58, -0.5, v58, v127
	v_fma_f32 v57, -0.5, v57, v0
	;; [unrolled: 1-line block ×3, first 2 shown]
	v_fma_f32 v34, v66, v117, -v55
	s_wait_loadcnt 0x8
	v_dual_fmac_f32 v67, v38, v66 :: v_dual_mul_f32 v36, v37, v75
	v_fma_f32 v38, v64, v119, -v65
	v_dual_mul_f32 v55, v116, v75 :: v_dual_mul_f32 v64, v73, v118
	v_dual_mul_f32 v65, v35, v73 :: v_dual_fmac_f32 v96, v28, v68
	v_fma_f32 v56, v70, v123, -v56
	v_dual_fmac_f32 v71, v30, v70 :: v_dual_add_f32 v30, v52, v40
	v_fma_f32 v66, v68, v125, -v69
	v_fma_f32 v32, v98, v129, -v99
	v_add_f32_e32 v28, v45, v42
	s_wait_loadcnt 0x7
	v_dual_add_f32 v68, v126, v45 :: v_dual_mul_f32 v69, v101, v128
	v_dual_add_f32 v70, v33, v52 :: v_dual_add_f32 v73, v44, v39
	v_dual_mul_f32 v75, v31, v101 :: v_dual_add_f32 v98, v2, v54
	v_dual_sub_f32 v52, v52, v40 :: v_dual_add_f32 v101, v51, v2
	v_dual_add_f32 v99, v53, v44 :: v_dual_sub_f32 v44, v44, v39
	s_wait_loadcnt 0x6
	v_mul_f32_e32 v117, v29, v79
	v_dual_mul_f32 v79, v122, v79 :: v_dual_fmac_f32 v64, v35, v72
	v_sub_f32_e32 v113, v2, v54
	v_dual_sub_f32 v45, v45, v42 :: v_dual_sub_f32 v0, v110, v111
	v_dual_sub_f32 v1, v11, v48 :: v_dual_add_f32 v2, v110, v111
	v_add_f32_e32 v3, v11, v48
	v_dual_mul_f32 v11, v77, v124 :: v_dual_fmamk_f32 v48, v63, 0xbf5db3d7, v58
	v_dual_fmac_f32 v58, 0x3f5db3d7, v63 :: v_dual_fmamk_f32 v63, v43, 0x3f5db3d7, v97
	v_fmac_f32_e32 v97, 0xbf5db3d7, v43
	v_fmamk_f32 v43, v115, 0xbf5db3d7, v57
	v_fmac_f32_e32 v57, 0x3f5db3d7, v115
	v_fmamk_f32 v110, v112, 0x3f5db3d7, v41
	v_fmac_f32_e32 v41, 0xbf5db3d7, v112
	v_mul_f32_e32 v77, v27, v77
	v_fma_f32 v36, v74, v116, -v36
	v_fmac_f32_e32 v55, v37, v74
	v_fma_f32 v35, v72, v118, -v65
	v_fma_f32 v65, -0.5, v28, v126
	v_fma_f32 v72, -0.5, v30, v33
	v_fmac_f32_e32 v69, v31, v100
	v_fma_f32 v31, -0.5, v73, v53
	v_fma_f32 v51, -0.5, v98, v51
	v_add_f32_e32 v98, v96, v114
	v_dual_add_f32 v30, v68, v42 :: v_dual_add_f32 v33, v99, v39
	v_add_f32_e32 v39, v101, v54
	v_add_f32_e32 v42, v56, v34
	;; [unrolled: 1-line block ×3, first 2 shown]
	v_sub_f32_e32 v68, v38, v32
	v_dual_add_f32 v37, v70, v40 :: v_dual_mul_f32 v112, -0.5, v43
	v_fma_f32 v40, v100, v128, -v75
	v_fma_f32 v70, v78, v122, -v117
	v_add_f32_e32 v73, v38, v32
	v_dual_add_f32 v75, v107, v56 :: v_dual_add_f32 v38, v66, v38
	s_wait_loadcnt_dscnt 0x502
	v_mul_f32_e32 v100, v81, v60
	v_dual_fmac_f32 v79, v29, v78 :: v_dual_add_f32 v78, v71, v67
	v_dual_sub_f32 v53, v71, v67 :: v_dual_sub_f32 v28, v30, v33
	v_sub_f32_e32 v74, v114, v120
	v_dual_sub_f32 v56, v56, v34 :: v_dual_fmac_f32 v11, v27, v76
	v_fma_f32 v76, v76, v124, -v77
	v_mul_f32_e32 v77, v16, v83
	s_wait_loadcnt 0x4
	v_mul_f32_e32 v99, v18, v87
	v_mul_f32_e32 v83, v5, v83
	;; [unrolled: 1-line block ×3, first 2 shown]
	s_wait_loadcnt_dscnt 0x301
	v_dual_mul_f32 v111, v103, v47 :: v_dual_fmac_f32 v100, v20, v80
	v_mul_f32_e32 v103, v24, v103
	v_dual_mul_f32 v81, v20, v81 :: v_dual_fmac_f32 v112, 0x3f5db3d7, v63
	v_dual_mul_f32 v114, 0.5, v57 :: v_dual_sub_f32 v27, v37, v39
	v_dual_add_f32 v30, v30, v33 :: v_dual_fmamk_f32 v33, v113, 0xbf5db3d7, v31
	v_fmac_f32_e32 v31, 0x3f5db3d7, v113
	v_fmamk_f32 v113, v45, 0x3f5db3d7, v72
	v_dual_fmac_f32 v72, 0xbf5db3d7, v45 :: v_dual_add_f32 v71, v26, v71
	s_wait_dscnt 0x0
	v_dual_add_f32 v34, v75, v34 :: v_dual_mul_f32 v101, v85, v109
	v_mul_f32_e32 v85, v22, v85
	v_fma_f32 v45, -0.5, v54, v96
	v_sub_f32_e32 v54, v79, v55
	v_add_f32_e32 v29, v37, v39
	v_add_f32_e32 v37, v38, v32
	v_fmamk_f32 v115, v52, 0xbf5db3d7, v65
	v_fmac_f32_e32 v65, 0x3f5db3d7, v52
	v_fmamk_f32 v52, v44, 0x3f5db3d7, v51
	v_fmac_f32_e32 v51, 0xbf5db3d7, v44
	v_fma_f32 v44, -0.5, v73, v66
	v_fma_f32 v73, -0.5, v42, v107
	;; [unrolled: 1-line block ×3, first 2 shown]
	v_add_f32_e32 v42, v70, v36
	v_dual_add_f32 v38, v71, v67 :: v_dual_fmac_f32 v111, v24, v102
	v_add_f32_e32 v24, v106, v70
	v_sub_f32_e32 v70, v70, v36
	v_fmac_f32_e32 v87, v18, v86
	v_fma_f32 v18, v84, v109, -v85
	v_fma_f32 v5, v82, v5, -v77
	v_fmac_f32_e32 v83, v16, v82
	v_fma_f32 v16, v80, v60, -v81
	v_fmac_f32_e32 v114, 0x3f5db3d7, v97
	v_sub_f32_e32 v71, v64, v69
	v_fmamk_f32 v81, v74, 0xbf5db3d7, v44
	v_fmac_f32_e32 v44, 0x3f5db3d7, v74
	v_fmamk_f32 v74, v56, 0x3f5db3d7, v26
	v_dual_mul_f32 v57, 0xbf5db3d7, v57 :: v_dual_mul_f32 v60, 0.5, v31
	v_dual_fmac_f32 v101, v22, v84 :: v_dual_add_f32 v22, v64, v69
	v_add_f32_e32 v64, v11, v64
	v_fma_f32 v78, v102, v47, -v103
	v_add_f32_e32 v67, v35, v40
	v_dual_fmac_f32 v26, 0xbf5db3d7, v56 :: v_dual_mul_f32 v43, 0xbf5db3d7, v43
	v_dual_mul_f32 v20, -0.5, v33 :: v_dual_add_f32 v47, v79, v55
	v_fma_f32 v82, -0.5, v42, v106
	v_sub_f32_e32 v66, v35, v40
	v_fma_f32 v7, v86, v7, -v99
	s_delay_alu instid0(VALU_DEP_4)
	v_dual_fmac_f32 v20, 0x3f5db3d7, v52 :: v_dual_add_f32 v35, v76, v35
	v_add_f32_e32 v75, v25, v79
	v_fma_f32 v11, -0.5, v22, v11
	v_fma_f32 v84, -0.5, v47, v25
	v_add_f32_e32 v86, v64, v69
	v_dual_sub_f32 v32, v34, v37 :: v_dual_fmamk_f32 v79, v53, 0xbf5db3d7, v73
	v_fmac_f32_e32 v73, 0x3f5db3d7, v53
	v_dual_add_f32 v53, v24, v36 :: v_dual_add_f32 v64, v18, v78
	v_fma_f32 v22, -0.5, v67, v76
	v_dual_sub_f32 v36, v58, v114 :: v_dual_fmac_f32 v57, 0.5, v97
	v_fmamk_f32 v76, v54, 0xbf5db3d7, v82
	v_dual_add_f32 v39, v98, v120 :: v_dual_sub_f32 v96, v83, v87
	v_dual_fmac_f32 v43, -0.5, v63 :: v_dual_fmac_f32 v82, 0x3f5db3d7, v54
	v_mul_f32_e32 v77, 0xbf5db3d7, v31
	v_fmamk_f32 v80, v68, 0x3f5db3d7, v45
	v_add_f32_e32 v34, v34, v37
	v_dual_add_f32 v56, v35, v40 :: v_dual_mul_f32 v63, 0xbf5db3d7, v33
	v_dual_add_f32 v33, v38, v39 :: v_dual_add_f32 v54, v115, v20
	v_dual_sub_f32 v25, v48, v112 :: v_dual_fmac_f32 v60, 0x3f5db3d7, v51
	v_dual_sub_f32 v31, v38, v39 :: v_dual_add_f32 v38, v48, v112
	v_dual_add_f32 v39, v41, v57 :: v_dual_sub_f32 v48, v115, v20
	v_sub_f32_e32 v35, v41, v57
	v_fmamk_f32 v57, v71, 0xbf5db3d7, v22
	v_fmac_f32_e32 v45, 0xbf5db3d7, v68
	v_dual_mul_f32 v68, 0.5, v44 :: v_dual_add_f32 v85, v75, v55
	v_add_f32_e32 v47, v5, v7
	v_dual_sub_f32 v24, v110, v43 :: v_dual_mul_f32 v75, 0xbf5db3d7, v44
	v_fmamk_f32 v98, v70, 0x3f5db3d7, v84
	v_fmac_f32_e32 v84, 0xbf5db3d7, v70
	v_mul_f32_e32 v20, -0.5, v57
	v_dual_fmac_f32 v68, 0x3f5db3d7, v45 :: v_dual_add_f32 v37, v110, v43
	v_dual_fmac_f32 v77, 0.5, v51 :: v_dual_sub_f32 v42, v53, v56
	v_dual_add_f32 v44, v53, v56 :: v_dual_mul_f32 v43, -0.5, v81
	v_mul_f32_e32 v69, 0xbf5db3d7, v81
	v_fmamk_f32 v81, v66, 0x3f5db3d7, v11
	v_fmac_f32_e32 v63, -0.5, v52
	v_sub_f32_e32 v52, v65, v60
	v_add_f32_e32 v56, v65, v60
	v_dual_mul_f32 v60, 0xbf5db3d7, v57 :: v_dual_sub_f32 v67, v101, v111
	v_fmac_f32_e32 v20, 0x3f5db3d7, v81
	v_fmac_f32_e32 v22, 0x3f5db3d7, v71
	v_add_f32_e32 v55, v101, v111
	v_fma_f32 v99, -0.5, v47, v50
	v_fma_f32 v103, -0.5, v64, v16
	v_dual_sub_f32 v97, v18, v78 :: v_dual_sub_f32 v64, v73, v68
	v_dual_add_f32 v68, v73, v68 :: v_dual_sub_f32 v51, v72, v77
	v_dual_fmac_f32 v60, -0.5, v81 :: v_dual_add_f32 v53, v113, v63
	v_dual_add_f32 v16, v16, v18 :: v_dual_fmac_f32 v69, -0.5, v80
	v_dual_add_f32 v18, v83, v87 :: v_dual_sub_f32 v41, v85, v86
	v_sub_f32_e32 v70, v76, v20
	v_fmac_f32_e32 v43, 0x3f5db3d7, v80
	v_fmamk_f32 v80, v67, 0xbf5db3d7, v103
	v_dual_add_f32 v16, v16, v78 :: v_dual_add_f32 v65, v74, v69
	v_fma_f32 v18, -0.5, v18, v14
	v_fmac_f32_e32 v103, 0x3f5db3d7, v67
	v_dual_sub_f32 v57, v74, v69 :: v_dual_add_f32 v74, v76, v20
	v_fmamk_f32 v20, v96, 0xbf5db3d7, v99
	v_fmac_f32_e32 v75, 0.5, v45
	v_mul_f32_e32 v45, 0.5, v22
	v_mul_f32_e32 v22, 0xbf5db3d7, v22
	v_fma_f32 v102, -0.5, v55, v100
	v_fmac_f32_e32 v11, 0xbf5db3d7, v66
	v_add_f32_e32 v55, v72, v77
	v_fmac_f32_e32 v99, 0x3f5db3d7, v96
	v_sub_f32_e32 v47, v113, v63
	v_fmamk_f32 v77, v97, 0x3f5db3d7, v102
	v_fmac_f32_e32 v102, 0xbf5db3d7, v97
	v_fmac_f32_e32 v45, 0x3f5db3d7, v11
	v_dual_fmac_f32 v22, 0.5, v11 :: v_dual_mul_f32 v11, -0.5, v80
	s_delay_alu instid0(VALU_DEP_1) | instskip(NEXT) | instid1(VALU_DEP_1)
	v_dual_add_f32 v40, v58, v114 :: v_dual_fmac_f32 v11, 0x3f5db3d7, v77
	v_sub_f32_e32 v78, v20, v11
	v_sub_f32_e32 v63, v26, v75
	v_add_f32_e32 v67, v26, v75
	v_dual_add_f32 v26, v50, v5 :: v_dual_sub_f32 v5, v5, v7
	s_delay_alu instid0(VALU_DEP_1) | instskip(NEXT) | instid1(VALU_DEP_2)
	v_dual_add_f32 v75, v84, v22 :: v_dual_add_f32 v26, v26, v7
	v_fmamk_f32 v50, v5, 0x3f5db3d7, v18
	v_dual_fmac_f32 v18, 0xbf5db3d7, v5 :: v_dual_add_f32 v5, v14, v83
	s_wait_loadcnt 0x1
	v_mul_f32_e32 v14, v15, v95
	v_sub_f32_e32 v58, v79, v43
	v_dual_add_f32 v66, v79, v43 :: v_dual_add_f32 v7, v100, v101
	v_add_f32_e32 v83, v5, v87
	v_dual_add_f32 v5, v20, v11 :: v_dual_mul_f32 v20, v89, v108
	s_wait_loadcnt 0x0
	v_mul_f32_e32 v87, v105, v46
	v_sub_f32_e32 v71, v84, v22
	v_dual_sub_f32 v69, v98, v60 :: v_dual_add_f32 v84, v7, v111
	v_fmac_f32_e32 v20, v21, v88
	s_delay_alu instid0(VALU_DEP_4)
	v_fmac_f32_e32 v87, v23, v104
	v_add_f32_e32 v43, v85, v86
	v_fma_f32 v85, v94, v4, -v14
	v_mul_f32_e32 v14, v23, v105
	v_mul_f32_e32 v22, 0.5, v103
	v_mul_f32_e32 v23, v4, v95
	v_dual_add_f32 v73, v98, v60 :: v_dual_mul_f32 v60, 0xbf5db3d7, v103
	s_delay_alu instid0(VALU_DEP_4) | instskip(NEXT) | instid1(VALU_DEP_4)
	v_fma_f32 v46, v104, v46, -v14
	v_dual_mul_f32 v7, v21, v89 :: v_dual_fmac_f32 v22, 0x3f5db3d7, v102
	s_delay_alu instid0(VALU_DEP_4) | instskip(SKIP_1) | instid1(VALU_DEP_3)
	v_dual_fmac_f32 v23, v15, v94 :: v_dual_sub_f32 v72, v82, v45
	v_add_f32_e32 v76, v82, v45
	v_fma_f32 v89, v88, v108, -v7
	v_dual_mul_f32 v45, 0xbf5db3d7, v80 :: v_dual_fmac_f32 v60, 0.5, v102
	v_sub_f32_e32 v82, v26, v16
	s_delay_alu instid0(VALU_DEP_3) | instskip(SKIP_1) | instid1(VALU_DEP_1)
	v_dual_add_f32 v15, v26, v16 :: v_dual_sub_f32 v14, v89, v46
	v_mul_f32_e32 v79, v17, v91
	v_fma_f32 v86, v90, v6, -v79
	v_mul_f32_e32 v7, v19, v93
	v_mul_f32_e32 v93, v93, v59
	s_delay_alu instid0(VALU_DEP_2) | instskip(SKIP_3) | instid1(VALU_DEP_3)
	v_fma_f32 v21, v92, v59, -v7
	v_add_f32_e32 v7, v89, v46
	v_mul_f32_e32 v59, v6, v91
	v_sub_f32_e32 v6, v20, v87
	v_fma_f32 v88, -0.5, v7, v21
	s_delay_alu instid0(VALU_DEP_3) | instskip(SKIP_1) | instid1(VALU_DEP_3)
	v_fmac_f32_e32 v59, v17, v90
	v_sub_f32_e32 v79, v18, v60
	v_fmamk_f32 v91, v6, 0xbf5db3d7, v88
	v_add_f32_e32 v11, v85, v86
	v_fmac_f32_e32 v88, 0x3f5db3d7, v6
	v_add_f32_e32 v6, v18, v60
	v_add_f32_e32 v18, v21, v89
	v_mul_f32_e32 v94, -0.5, v91
	v_sub_f32_e32 v80, v99, v22
	v_add_f32_e32 v7, v99, v22
	v_fma_f32 v22, -0.5, v11, v49
	v_sub_f32_e32 v11, v23, v59
	v_add_f32_e32 v4, v20, v87
	v_dual_add_f32 v46, v18, v46 :: v_dual_fmac_f32 v93, v19, v92
	v_add_f32_e32 v16, v23, v59
	s_delay_alu instid0(VALU_DEP_4) | instskip(SKIP_1) | instid1(VALU_DEP_4)
	v_dual_fmamk_f32 v26, v11, 0xbf5db3d7, v22 :: v_dual_fmac_f32 v45, -0.5, v77
	v_fmac_f32_e32 v22, 0x3f5db3d7, v11
	v_fma_f32 v90, -0.5, v4, v93
	v_add_f32_e32 v11, v49, v85
	v_fma_f32 v49, -0.5, v16, v13
	v_sub_f32_e32 v77, v50, v45
	v_add_f32_e32 v4, v50, v45
	v_mul_f32_e32 v50, 0.5, v88
	v_sub_f32_e32 v81, v83, v84
	v_add_f32_e32 v45, v11, v86
	v_dual_add_f32 v11, v13, v23 :: v_dual_fmamk_f32 v92, v14, 0x3f5db3d7, v90
	v_fmac_f32_e32 v90, 0xbf5db3d7, v14
	s_delay_alu instid0(VALU_DEP_3) | instskip(NEXT) | instid1(VALU_DEP_3)
	v_dual_add_f32 v14, v83, v84 :: v_dual_sub_f32 v21, v45, v46
	v_add_f32_e32 v59, v11, v59
	v_dual_mov_b32 v11, v12 :: v_dual_add_f32 v46, v45, v46
	v_add_f32_e32 v13, v93, v20
	v_sub_f32_e32 v16, v85, v86
	v_mul_f32_e32 v84, 0xbf5db3d7, v88
	s_delay_alu instid0(VALU_DEP_4) | instskip(NEXT) | instid1(VALU_DEP_4)
	v_lshlrev_b64_e32 v[10:11], 3, v[10:11]
	v_dual_fmac_f32 v50, 0x3f5db3d7, v90 :: v_dual_add_f32 v13, v13, v87
	s_delay_alu instid0(VALU_DEP_4) | instskip(NEXT) | instid1(VALU_DEP_4)
	v_fmamk_f32 v83, v16, 0x3f5db3d7, v49
	v_dual_fmac_f32 v49, 0xbf5db3d7, v16 :: v_dual_fmac_f32 v84, 0.5, v90
	s_delay_alu instid0(VALU_DEP_4) | instskip(NEXT) | instid1(VALU_DEP_4)
	v_add_co_u32 v8, vcc_lo, v8, v10
	v_sub_f32_e32 v20, v59, v13
	v_dual_mul_f32 v60, 0xbf5db3d7, v91 :: v_dual_add_f32 v45, v59, v13
	s_wait_alu 0xfffd
	v_add_co_ci_u32_e32 v9, vcc_lo, v9, v11, vcc_lo
	v_lshrrev_b32_e32 v13, 3, v62
	v_fmac_f32_e32 v94, 0x3f5db3d7, v92
	v_dual_fmac_f32 v60, -0.5, v92 :: v_dual_add_f32 v11, v22, v50
	v_add_f32_e32 v10, v49, v84
	s_clause 0x3
	global_store_b64 v[8:9], v[45:46], off
	global_store_b64 v[8:9], v[14:15], off offset:480
	global_store_b64 v[8:9], v[43:44], off offset:960
	global_store_b64 v[8:9], v[33:34], off offset:1440
	v_mul_hi_u32 v13, 0x16c16c17, v13
	v_lshrrev_b32_e32 v14, 3, v61
	v_sub_f32_e32 v19, v22, v50
	v_dual_add_f32 v23, v26, v94 :: v_dual_add_f32 v22, v83, v60
	s_clause 0x3
	global_store_b64 v[8:9], v[10:11], off offset:2880
	global_store_b64 v[8:9], v[6:7], off offset:3360
	;; [unrolled: 1-line block ×4, first 2 shown]
	v_mul_hi_u32 v6, 0x16c16c17, v14
	s_clause 0x3
	global_store_b64 v[8:9], v[22:23], off offset:5760
	global_store_b64 v[8:9], v[4:5], off offset:6240
	;; [unrolled: 1-line block ×4, first 2 shown]
	v_lshrrev_b32_e32 v4, 2, v13
	v_dual_sub_f32 v17, v26, v94 :: v_dual_sub_f32 v16, v83, v60
	v_sub_f32_e32 v18, v49, v84
	v_lshrrev_b32_e32 v6, 2, v6
	s_delay_alu instid0(VALU_DEP_4)
	v_mul_u32_u24_e32 v11, 0x708, v4
	s_clause 0xb
	global_store_b64 v[8:9], v[20:21], off offset:8640
	global_store_b64 v[8:9], v[81:82], off offset:9120
	;; [unrolled: 1-line block ×12, first 2 shown]
	v_lshlrev_b64_e32 v[4:5], 3, v[11:12]
	v_mul_u32_u24_e32 v11, 0x708, v6
	s_delay_alu instid0(VALU_DEP_1) | instskip(NEXT) | instid1(VALU_DEP_3)
	v_lshlrev_b64_e32 v[6:7], 3, v[11:12]
	v_add_co_u32 v4, vcc_lo, v8, v4
	s_wait_alu 0xfffd
	s_delay_alu instid0(VALU_DEP_4) | instskip(NEXT) | instid1(VALU_DEP_3)
	v_add_co_ci_u32_e32 v5, vcc_lo, v9, v5, vcc_lo
	v_add_co_u32 v6, vcc_lo, v8, v6
	s_wait_alu 0xfffd
	v_add_co_ci_u32_e32 v7, vcc_lo, v9, v7, vcc_lo
	s_clause 0xb
	global_store_b64 v[4:5], v[29:30], off offset:1920
	global_store_b64 v[4:5], v[55:56], off offset:4800
	;; [unrolled: 1-line block ×12, first 2 shown]
.LBB0_19:
	s_nop 0
	s_sendmsg sendmsg(MSG_DEALLOC_VGPRS)
	s_endpgm
	.section	.rodata,"a",@progbits
	.p2align	6, 0x0
	.amdhsa_kernel fft_rtc_back_len2160_factors_10_6_6_6_wgs_60_tpt_60_halfLds_sp_ip_CI_unitstride_sbrr_dirReg
		.amdhsa_group_segment_fixed_size 0
		.amdhsa_private_segment_fixed_size 0
		.amdhsa_kernarg_size 88
		.amdhsa_user_sgpr_count 2
		.amdhsa_user_sgpr_dispatch_ptr 0
		.amdhsa_user_sgpr_queue_ptr 0
		.amdhsa_user_sgpr_kernarg_segment_ptr 1
		.amdhsa_user_sgpr_dispatch_id 0
		.amdhsa_user_sgpr_private_segment_size 0
		.amdhsa_wavefront_size32 1
		.amdhsa_uses_dynamic_stack 0
		.amdhsa_enable_private_segment 0
		.amdhsa_system_sgpr_workgroup_id_x 1
		.amdhsa_system_sgpr_workgroup_id_y 0
		.amdhsa_system_sgpr_workgroup_id_z 0
		.amdhsa_system_sgpr_workgroup_info 0
		.amdhsa_system_vgpr_workitem_id 0
		.amdhsa_next_free_vgpr 151
		.amdhsa_next_free_sgpr 32
		.amdhsa_reserve_vcc 1
		.amdhsa_float_round_mode_32 0
		.amdhsa_float_round_mode_16_64 0
		.amdhsa_float_denorm_mode_32 3
		.amdhsa_float_denorm_mode_16_64 3
		.amdhsa_fp16_overflow 0
		.amdhsa_workgroup_processor_mode 1
		.amdhsa_memory_ordered 1
		.amdhsa_forward_progress 0
		.amdhsa_round_robin_scheduling 0
		.amdhsa_exception_fp_ieee_invalid_op 0
		.amdhsa_exception_fp_denorm_src 0
		.amdhsa_exception_fp_ieee_div_zero 0
		.amdhsa_exception_fp_ieee_overflow 0
		.amdhsa_exception_fp_ieee_underflow 0
		.amdhsa_exception_fp_ieee_inexact 0
		.amdhsa_exception_int_div_zero 0
	.end_amdhsa_kernel
	.text
.Lfunc_end0:
	.size	fft_rtc_back_len2160_factors_10_6_6_6_wgs_60_tpt_60_halfLds_sp_ip_CI_unitstride_sbrr_dirReg, .Lfunc_end0-fft_rtc_back_len2160_factors_10_6_6_6_wgs_60_tpt_60_halfLds_sp_ip_CI_unitstride_sbrr_dirReg
                                        ; -- End function
	.section	.AMDGPU.csdata,"",@progbits
; Kernel info:
; codeLenInByte = 17108
; NumSgprs: 34
; NumVgprs: 151
; ScratchSize: 0
; MemoryBound: 0
; FloatMode: 240
; IeeeMode: 1
; LDSByteSize: 0 bytes/workgroup (compile time only)
; SGPRBlocks: 4
; VGPRBlocks: 18
; NumSGPRsForWavesPerEU: 34
; NumVGPRsForWavesPerEU: 151
; Occupancy: 9
; WaveLimiterHint : 1
; COMPUTE_PGM_RSRC2:SCRATCH_EN: 0
; COMPUTE_PGM_RSRC2:USER_SGPR: 2
; COMPUTE_PGM_RSRC2:TRAP_HANDLER: 0
; COMPUTE_PGM_RSRC2:TGID_X_EN: 1
; COMPUTE_PGM_RSRC2:TGID_Y_EN: 0
; COMPUTE_PGM_RSRC2:TGID_Z_EN: 0
; COMPUTE_PGM_RSRC2:TIDIG_COMP_CNT: 0
	.text
	.p2alignl 7, 3214868480
	.fill 96, 4, 3214868480
	.type	__hip_cuid_4906d9b96d4e1f6b,@object ; @__hip_cuid_4906d9b96d4e1f6b
	.section	.bss,"aw",@nobits
	.globl	__hip_cuid_4906d9b96d4e1f6b
__hip_cuid_4906d9b96d4e1f6b:
	.byte	0                               ; 0x0
	.size	__hip_cuid_4906d9b96d4e1f6b, 1

	.ident	"AMD clang version 19.0.0git (https://github.com/RadeonOpenCompute/llvm-project roc-6.4.0 25133 c7fe45cf4b819c5991fe208aaa96edf142730f1d)"
	.section	".note.GNU-stack","",@progbits
	.addrsig
	.addrsig_sym __hip_cuid_4906d9b96d4e1f6b
	.amdgpu_metadata
---
amdhsa.kernels:
  - .args:
      - .actual_access:  read_only
        .address_space:  global
        .offset:         0
        .size:           8
        .value_kind:     global_buffer
      - .offset:         8
        .size:           8
        .value_kind:     by_value
      - .actual_access:  read_only
        .address_space:  global
        .offset:         16
        .size:           8
        .value_kind:     global_buffer
      - .actual_access:  read_only
        .address_space:  global
        .offset:         24
        .size:           8
        .value_kind:     global_buffer
      - .offset:         32
        .size:           8
        .value_kind:     by_value
      - .actual_access:  read_only
        .address_space:  global
        .offset:         40
        .size:           8
        .value_kind:     global_buffer
      - .actual_access:  read_only
        .address_space:  global
        .offset:         48
        .size:           8
        .value_kind:     global_buffer
      - .offset:         56
        .size:           4
        .value_kind:     by_value
      - .actual_access:  read_only
        .address_space:  global
        .offset:         64
        .size:           8
        .value_kind:     global_buffer
      - .actual_access:  read_only
        .address_space:  global
        .offset:         72
        .size:           8
        .value_kind:     global_buffer
      - .address_space:  global
        .offset:         80
        .size:           8
        .value_kind:     global_buffer
    .group_segment_fixed_size: 0
    .kernarg_segment_align: 8
    .kernarg_segment_size: 88
    .language:       OpenCL C
    .language_version:
      - 2
      - 0
    .max_flat_workgroup_size: 60
    .name:           fft_rtc_back_len2160_factors_10_6_6_6_wgs_60_tpt_60_halfLds_sp_ip_CI_unitstride_sbrr_dirReg
    .private_segment_fixed_size: 0
    .sgpr_count:     34
    .sgpr_spill_count: 0
    .symbol:         fft_rtc_back_len2160_factors_10_6_6_6_wgs_60_tpt_60_halfLds_sp_ip_CI_unitstride_sbrr_dirReg.kd
    .uniform_work_group_size: 1
    .uses_dynamic_stack: false
    .vgpr_count:     151
    .vgpr_spill_count: 0
    .wavefront_size: 32
    .workgroup_processor_mode: 1
amdhsa.target:   amdgcn-amd-amdhsa--gfx1201
amdhsa.version:
  - 1
  - 2
...

	.end_amdgpu_metadata
